;; amdgpu-corpus repo=ROCm/rocFFT kind=compiled arch=gfx1201 opt=O3
	.text
	.amdgcn_target "amdgcn-amd-amdhsa--gfx1201"
	.amdhsa_code_object_version 6
	.protected	bluestein_single_fwd_len255_dim1_half_op_CI_CI ; -- Begin function bluestein_single_fwd_len255_dim1_half_op_CI_CI
	.globl	bluestein_single_fwd_len255_dim1_half_op_CI_CI
	.p2align	8
	.type	bluestein_single_fwd_len255_dim1_half_op_CI_CI,@function
bluestein_single_fwd_len255_dim1_half_op_CI_CI: ; @bluestein_single_fwd_len255_dim1_half_op_CI_CI
; %bb.0:
	s_load_b128 s[4:7], s[0:1], 0x28
	v_mul_u32_u24_e32 v1, 0xf10, v0
	s_mov_b32 s2, exec_lo
	s_delay_alu instid0(VALU_DEP_1) | instskip(NEXT) | instid1(VALU_DEP_1)
	v_lshrrev_b32_e32 v1, 16, v1
	v_mad_co_u64_u32 v[8:9], null, ttmp9, 3, v[1:2]
	v_mov_b32_e32 v9, 0
	s_wait_kmcnt 0x0
	s_delay_alu instid0(VALU_DEP_1)
	v_cmpx_gt_u64_e64 s[4:5], v[8:9]
	s_cbranch_execz .LBB0_15
; %bb.1:
	v_mul_hi_u32 v2, 0xaaaaaaab, v8
	v_mul_lo_u16 v1, v1, 17
	s_clause 0x1
	s_load_b64 s[12:13], s[0:1], 0x0
	s_load_b64 s[14:15], s[0:1], 0x38
	s_delay_alu instid0(VALU_DEP_1) | instskip(NEXT) | instid1(VALU_DEP_3)
	v_sub_nc_u16 v0, v0, v1
	v_lshrrev_b32_e32 v2, 1, v2
	s_delay_alu instid0(VALU_DEP_2) | instskip(SKIP_1) | instid1(VALU_DEP_3)
	v_and_b32_e32 v38, 0xffff, v0
	v_cmp_gt_u16_e32 vcc_lo, 15, v0
	v_lshl_add_u32 v2, v2, 1, v2
	s_delay_alu instid0(VALU_DEP_3) | instskip(SKIP_1) | instid1(VALU_DEP_3)
	v_lshlrev_b32_e32 v36, 2, v38
	v_or_b32_e32 v35, 0xf0, v38
	v_sub_nc_u32_e32 v1, v8, v2
	s_delay_alu instid0(VALU_DEP_1) | instskip(NEXT) | instid1(VALU_DEP_1)
	v_mul_u32_u24_e32 v37, 0xff, v1
	v_lshlrev_b32_e32 v39, 2, v37
	s_and_saveexec_b32 s3, vcc_lo
	s_cbranch_execz .LBB0_3
; %bb.2:
	s_load_b64 s[4:5], s[0:1], 0x18
	s_wait_kmcnt 0x0
	s_load_b128 s[8:11], s[4:5], 0x0
	s_wait_kmcnt 0x0
	v_mad_co_u64_u32 v[0:1], null, s10, v8, 0
	v_mad_co_u64_u32 v[2:3], null, s8, v38, 0
	;; [unrolled: 1-line block ×3, first 2 shown]
	s_mul_u64 s[4:5], s[8:9], 60
	s_delay_alu instid0(VALU_DEP_2) | instskip(NEXT) | instid1(VALU_DEP_2)
	v_mad_co_u64_u32 v[6:7], null, s11, v8, v[1:2]
	v_mad_co_u64_u32 v[9:10], null, s9, v38, v[3:4]
	s_clause 0x7
	global_load_b32 v7, v36, s[12:13]
	global_load_b32 v12, v36, s[12:13] offset:60
	global_load_b32 v13, v36, s[12:13] offset:120
	;; [unrolled: 1-line block ×7, first 2 shown]
	v_mad_co_u64_u32 v[10:11], null, s9, v35, v[5:6]
	v_mov_b32_e32 v1, v6
	v_mov_b32_e32 v3, v9
	s_clause 0x7
	global_load_b32 v6, v36, s[12:13] offset:480
	global_load_b32 v11, v36, s[12:13] offset:540
	;; [unrolled: 1-line block ×8, first 2 shown]
	v_lshlrev_b64_e32 v[0:1], 2, v[0:1]
	v_mov_b32_e32 v5, v10
	v_lshlrev_b64_e32 v[2:3], 2, v[2:3]
	s_delay_alu instid0(VALU_DEP_3) | instskip(NEXT) | instid1(VALU_DEP_1)
	v_add_co_u32 v10, s2, s6, v0
	v_add_co_ci_u32_e64 v24, s2, s7, v1, s2
	s_delay_alu instid0(VALU_DEP_4) | instskip(NEXT) | instid1(VALU_DEP_3)
	v_lshlrev_b64_e32 v[0:1], 2, v[4:5]
	v_add_co_u32 v2, s2, v10, v2
	s_wait_alu 0xf1ff
	s_delay_alu instid0(VALU_DEP_3) | instskip(NEXT) | instid1(VALU_DEP_3)
	v_add_co_ci_u32_e64 v3, s2, v24, v3, s2
	v_add_co_u32 v0, s2, v10, v0
	s_wait_alu 0xf1ff
	v_add_co_ci_u32_e64 v1, s2, v24, v1, s2
	s_wait_alu 0xfffe
	v_add_co_u32 v4, s2, v2, s4
	s_wait_alu 0xf1ff
	v_add_co_ci_u32_e64 v5, s2, s5, v3, s2
	global_load_b32 v10, v[2:3], off
	global_load_b32 v24, v36, s[12:13] offset:900
	s_clause 0x1
	global_load_b32 v25, v[0:1], off
	global_load_b32 v26, v[4:5], off
	v_add_co_u32 v0, s2, v4, s4
	s_wait_alu 0xf1ff
	v_add_co_ci_u32_e64 v1, s2, s5, v5, s2
	s_delay_alu instid0(VALU_DEP_2) | instskip(SKIP_1) | instid1(VALU_DEP_2)
	v_add_co_u32 v2, s2, v0, s4
	s_wait_alu 0xf1ff
	v_add_co_ci_u32_e64 v3, s2, s5, v1, s2
	global_load_b32 v4, v[0:1], off
	v_add_co_u32 v0, s2, v2, s4
	s_wait_alu 0xf1ff
	v_add_co_ci_u32_e64 v1, s2, s5, v3, s2
	s_clause 0x1
	global_load_b32 v5, v[2:3], off
	global_load_b32 v27, v[0:1], off
	v_add_co_u32 v0, s2, v0, s4
	s_wait_alu 0xf1ff
	v_add_co_ci_u32_e64 v1, s2, s5, v1, s2
	s_delay_alu instid0(VALU_DEP_2) | instskip(SKIP_1) | instid1(VALU_DEP_2)
	v_add_co_u32 v2, s2, v0, s4
	s_wait_alu 0xf1ff
	v_add_co_ci_u32_e64 v3, s2, s5, v1, s2
	global_load_b32 v28, v[0:1], off
	global_load_b32 v29, v[2:3], off
	v_add_co_u32 v0, s2, v2, s4
	s_wait_alu 0xf1ff
	v_add_co_ci_u32_e64 v1, s2, s5, v3, s2
	s_delay_alu instid0(VALU_DEP_2) | instskip(SKIP_1) | instid1(VALU_DEP_2)
	v_add_co_u32 v2, s2, v0, s4
	s_wait_alu 0xf1ff
	v_add_co_ci_u32_e64 v3, s2, s5, v1, s2
	global_load_b32 v30, v[0:1], off
	v_add_co_u32 v0, s2, v2, s4
	s_wait_alu 0xf1ff
	v_add_co_ci_u32_e64 v1, s2, s5, v3, s2
	global_load_b32 v31, v[2:3], off
	global_load_b32 v32, v[0:1], off
	v_add_co_u32 v0, s2, v0, s4
	s_wait_alu 0xf1ff
	v_add_co_ci_u32_e64 v1, s2, s5, v1, s2
	s_delay_alu instid0(VALU_DEP_2) | instskip(SKIP_1) | instid1(VALU_DEP_2)
	v_add_co_u32 v2, s2, v0, s4
	s_wait_alu 0xf1ff
	v_add_co_ci_u32_e64 v3, s2, s5, v1, s2
	global_load_b32 v33, v[0:1], off
	v_add_co_u32 v0, s2, v2, s4
	s_wait_alu 0xf1ff
	v_add_co_ci_u32_e64 v1, s2, s5, v3, s2
	global_load_b32 v34, v[2:3], off
	;; [unrolled: 4-line block ×5, first 2 shown]
	global_load_b32 v1, v[2:3], off
	v_lshl_add_u32 v2, v38, 2, v39
	v_add_nc_u32_e32 v3, v39, v36
	s_wait_loadcnt 0x21
	v_lshrrev_b32_e32 v42, 16, v7
	s_wait_loadcnt 0x20
	v_lshrrev_b32_e32 v43, 16, v12
	;; [unrolled: 2-line block ×17, first 2 shown]
	v_mul_f16_e32 v59, v42, v10
	s_wait_loadcnt 0xf
	v_lshrrev_b32_e32 v61, 16, v25
	v_mul_f16_e32 v62, v57, v25
	s_wait_loadcnt 0xe
	v_mul_f16_e32 v63, v43, v26
	v_mul_f16_e32 v42, v42, v58
	v_fma_f16 v58, v7, v58, -v59
	v_lshrrev_b32_e32 v59, 16, v26
	v_mul_f16_e32 v57, v57, v61
	v_fma_f16 v61, v9, v61, -v62
	v_fmac_f16_e32 v42, v7, v10
	v_lshrrev_b32_e32 v60, 16, v24
	v_mul_f16_e32 v7, v43, v59
	s_wait_loadcnt 0xd
	v_lshrrev_b32_e32 v43, 16, v4
	v_fma_f16 v10, v12, v59, -v63
	v_mul_f16_e32 v59, v44, v4
	v_fmac_f16_e32 v57, v9, v25
	v_pack_b32_f16 v9, v42, v58
	v_fmac_f16_e32 v7, v12, v26
	v_mul_f16_e32 v12, v44, v43
	s_wait_loadcnt 0xc
	v_lshrrev_b32_e32 v26, 16, v5
	v_fma_f16 v25, v13, v43, -v59
	v_mul_f16_e32 v42, v45, v5
	ds_store_b32 v2, v9
	v_pack_b32_f16 v2, v7, v10
	v_fmac_f16_e32 v12, v13, v4
	v_mul_f16_e32 v4, v45, v26
	s_wait_loadcnt 0xb
	v_lshrrev_b32_e32 v7, 16, v27
	v_mul_f16_e32 v9, v46, v27
	v_fma_f16 v10, v14, v26, -v42
	v_pack_b32_f16 v12, v12, v25
	v_fmac_f16_e32 v4, v14, v5
	v_mul_f16_e32 v5, v46, v7
	v_fma_f16 v7, v15, v7, -v9
	s_wait_loadcnt 0xa
	v_lshrrev_b32_e32 v9, 16, v28
	v_mul_f16_e32 v13, v47, v28
	ds_store_2addr_b32 v3, v2, v12 offset0:15 offset1:30
	v_pack_b32_f16 v2, v4, v10
	v_fmac_f16_e32 v5, v15, v27
	v_mul_f16_e32 v4, v47, v9
	s_wait_loadcnt 0x9
	v_lshrrev_b32_e32 v10, 16, v29
	v_mul_f16_e32 v12, v48, v29
	v_fma_f16 v9, v16, v9, -v13
	v_pack_b32_f16 v5, v5, v7
	v_fmac_f16_e32 v4, v16, v28
	v_mul_f16_e32 v7, v48, v10
	v_fma_f16 v10, v17, v10, -v12
	s_wait_loadcnt 0x8
	v_lshrrev_b32_e32 v12, 16, v30
	v_mul_f16_e32 v13, v49, v30
	ds_store_2addr_b32 v3, v2, v5 offset0:45 offset1:60
	;; [unrolled: 15-line block ×3, first 2 shown]
	v_pack_b32_f16 v2, v4, v12
	v_fmac_f16_e32 v10, v6, v31
	v_mul_f16_e32 v4, v51, v9
	s_wait_loadcnt 0x5
	v_lshrrev_b32_e32 v6, 16, v33
	v_mul_f16_e32 v7, v52, v33
	v_fma_f16 v9, v11, v9, -v13
	v_pack_b32_f16 v5, v10, v5
	v_fmac_f16_e32 v4, v11, v32
	v_mul_f16_e32 v10, v52, v6
	v_fma_f16 v6, v19, v6, -v7
	s_wait_loadcnt 0x4
	v_lshrrev_b32_e32 v7, 16, v34
	v_mul_f16_e32 v11, v53, v34
	v_pack_b32_f16 v4, v4, v9
	v_fmac_f16_e32 v10, v19, v33
	s_wait_loadcnt 0x3
	v_lshrrev_b32_e32 v9, 16, v40
	v_mul_f16_e32 v12, v53, v7
	v_fma_f16 v7, v20, v7, -v11
	v_mul_f16_e32 v11, v54, v40
	v_pack_b32_f16 v6, v10, v6
	v_mul_f16_e32 v10, v54, v9
	s_wait_loadcnt 0x2
	v_lshrrev_b32_e32 v13, 16, v41
	s_wait_loadcnt 0x1
	v_lshrrev_b32_e32 v14, 16, v0
	v_fma_f16 v9, v21, v9, -v11
	v_mul_f16_e32 v11, v55, v41
	s_wait_loadcnt 0x0
	v_lshrrev_b32_e32 v16, 16, v1
	v_mul_f16_e32 v15, v55, v13
	v_mul_f16_e32 v17, v56, v14
	;; [unrolled: 1-line block ×3, first 2 shown]
	v_fma_f16 v11, v22, v13, -v11
	v_mul_f16_e32 v13, v56, v0
	v_mul_f16_e32 v19, v60, v16
	v_fmac_f16_e32 v12, v20, v34
	v_fmac_f16_e32 v10, v21, v40
	;; [unrolled: 1-line block ×3, first 2 shown]
	v_fma_f16 v13, v23, v14, -v13
	v_fmac_f16_e32 v17, v23, v0
	v_fma_f16 v0, v24, v16, -v18
	v_fmac_f16_e32 v19, v24, v1
	v_pack_b32_f16 v1, v12, v7
	v_pack_b32_f16 v7, v10, v9
	;; [unrolled: 1-line block ×6, first 2 shown]
	ds_store_2addr_b32 v3, v2, v5 offset0:105 offset1:120
	ds_store_2addr_b32 v3, v4, v6 offset0:135 offset1:150
	;; [unrolled: 1-line block ×5, first 2 shown]
.LBB0_3:
	s_or_b32 exec_lo, exec_lo, s3
	s_clause 0x1
	s_load_b64 s[4:5], s[0:1], 0x20
	s_load_b64 s[2:3], s[0:1], 0x8
	v_mov_b32_e32 v11, 0
	global_wb scope:SCOPE_SE
	s_wait_dscnt 0x0
	s_wait_kmcnt 0x0
	s_barrier_signal -1
	s_barrier_wait -1
	global_inv scope:SCOPE_SE
                                        ; implicit-def: $vgpr17
                                        ; implicit-def: $vgpr1
                                        ; implicit-def: $vgpr3
                                        ; implicit-def: $vgpr5
                                        ; implicit-def: $vgpr7
                                        ; implicit-def: $vgpr10
                                        ; implicit-def: $vgpr14
                                        ; implicit-def: $vgpr16
                                        ; implicit-def: $vgpr93
	s_and_saveexec_b32 s0, vcc_lo
	s_cbranch_execz .LBB0_5
; %bb.4:
	v_lshl_add_u32 v17, v37, 2, v36
	ds_load_2addr_b32 v[11:12], v17 offset1:15
	ds_load_2addr_b32 v[15:16], v17 offset0:30 offset1:45
	ds_load_2addr_b32 v[13:14], v17 offset0:60 offset1:75
	;; [unrolled: 1-line block ×7, first 2 shown]
	ds_load_b32 v17, v17 offset:960
	s_wait_dscnt 0x7
	v_alignbit_b32 v93, v15, v15, 16
.LBB0_5:
	s_wait_alu 0xfffe
	s_or_b32 exec_lo, exec_lo, s0
	s_wait_dscnt 0x0
	v_pk_add_f16 v15, v12, v17 neg_lo:[0,1] neg_hi:[0,1]
	v_pk_add_f16 v22, v93, v1 op_sel:[1,0] op_sel_hi:[0,1] neg_lo:[0,1] neg_hi:[0,1]
	v_pk_add_f16 v21, v17, v12
	v_pk_add_f16 v18, v1, v93 op_sel:[1,0] op_sel_hi:[0,1]
	v_pk_add_f16 v19, v16, v0 neg_lo:[0,1] neg_hi:[0,1]
	v_lshrrev_b32_e32 v72, 16, v15
	v_lshrrev_b32_e32 v75, 16, v22
	v_pk_mul_f16 v23, 0x3b7639e9, v21
	v_lshrrev_b32_e32 v45, 16, v21
	v_mul_f16_e32 v74, 0xb964, v15
	v_mul_f16_e32 v60, 0xb5c8, v72
	v_lshrrev_b32_e32 v33, 16, v18
	v_mul_f16_e32 v61, 0xb964, v75
	v_lshrrev_b32_e32 v76, 16, v19
	v_lshrrev_b32_e32 v31, 16, v11
	v_fmamk_f16 v24, v21, 0x3b76, v60
	v_pk_add_f16 v20, v0, v16
	v_pk_mul_f16 v25, 0xbbf7b964, v22
	v_mul_f16_e32 v77, 0xbbf7, v22
	v_fma_f16 v26, v45, 0x39e9, -v74
	v_fmamk_f16 v27, v33, 0x39e9, v61
	v_add_f16_e32 v24, v24, v11
	v_pk_fma_f16 v52, 0xb964b5c8, v15, v23 op_sel:[0,0,1] op_sel_hi:[1,1,0] neg_lo:[0,1,0] neg_hi:[0,1,0]
	v_pk_fma_f16 v53, 0xb964b5c8, v15, v23 op_sel:[0,0,1] op_sel_hi:[1,1,0]
	v_pk_add_f16 v23, v13, v3 neg_lo:[0,1] neg_hi:[0,1]
	v_mul_f16_e32 v62, 0xbb29, v76
	v_add_f16_e32 v26, v26, v31
	v_add_f16_e32 v27, v27, v24
	v_pk_fma_f16 v54, 0x2de839e9, v18, v25 neg_lo:[0,0,1] neg_hi:[0,0,1]
	v_pk_fma_f16 v55, 0x2de839e9, v18, v25
	v_fma_f16 v25, v18, 0x2de8, -v77
	v_lshrrev_b32_e32 v79, 16, v23
	v_fmamk_f16 v28, v20, 0x3722, v62
	v_lshrrev_b32_e32 v47, 16, v20
	v_mul_f16_e32 v80, 0xba62, v19
	v_pk_add_f16 v24, v3, v13
	v_mul_f16_e32 v63, 0xbbf7, v79
	v_pk_mul_f16 v29, 0x3722b8d2, v20
	v_add_f16_e32 v26, v25, v26
	v_add_f16_e32 v27, v28, v27
	v_fma_f16 v28, v47, 0xb8d2, -v80
	v_pk_add_f16 v25, v14, v2 neg_lo:[0,1] neg_hi:[0,1]
	v_fmamk_f16 v30, v24, 0x2de8, v63
	v_pk_fma_f16 v56, 0xba62bb29, v19, v29 op_sel:[0,0,1] op_sel_hi:[1,1,0] neg_lo:[0,1,0] neg_hi:[0,1,0]
	v_pk_fma_f16 v57, 0xba62bb29, v19, v29 op_sel:[0,0,1] op_sel_hi:[1,1,0]
	v_add_f16_e32 v29, v28, v26
	v_lshrrev_b32_e32 v81, 16, v25
	v_lshrrev_b32_e32 v46, 16, v24
	v_mul_f16_e32 v86, 0xb1e1, v23
	v_pk_add_f16 v26, v9, v5 neg_lo:[0,1] neg_hi:[0,1]
	v_add_f16_e32 v30, v30, v27
	v_pk_mul_f16 v28, 0x2de8bbdd, v24
	v_pk_add_f16 v27, v2, v14
	v_mul_f16_e32 v70, 0xbbb2, v81
	v_fma_f16 v32, v46, 0xbbdd, -v86
	v_lshrrev_b32_e32 v84, 16, v26
	v_pk_fma_f16 v58, 0xb1e1bbf7, v23, v28 op_sel:[0,0,1] op_sel_hi:[1,1,0] neg_lo:[0,1,0] neg_hi:[0,1,0]
	v_pk_fma_f16 v59, 0xb1e1bbf7, v23, v28 op_sel:[0,0,1] op_sel_hi:[1,1,0]
	v_fmamk_f16 v34, v27, 0xb461, v70
	v_lshrrev_b32_e32 v48, 16, v27
	v_mul_f16_e32 v87, 0x3836, v25
	v_pk_add_f16 v28, v5, v9
	v_mul_f16_e32 v66, 0xba62, v84
	v_add_f16_e32 v32, v32, v29
	v_pk_mul_f16 v40, 0xb461bacd, v27
	v_pk_add_f16 v29, v10, v4 neg_lo:[0,1] neg_hi:[0,1]
	v_add_f16_e32 v30, v34, v30
	v_fma_f16 v34, v48, 0xbacd, -v87
	v_fmamk_f16 v41, v28, 0xb8d2, v66
	v_pk_fma_f16 v64, 0x3836bbb2, v25, v40 op_sel:[0,0,1] op_sel_hi:[1,1,0] neg_lo:[0,1,0] neg_hi:[0,1,0]
	v_pk_fma_f16 v65, 0x3836bbb2, v25, v40 op_sel:[0,0,1] op_sel_hi:[1,1,0]
	v_lshrrev_b32_e32 v88, 16, v29
	v_pk_mul_f16 v40, 0xb8d2b461, v28
	v_add_f16_e32 v32, v34, v32
	v_add_f16_e32 v34, v41, v30
	v_pk_add_f16 v30, v4, v10
	v_mul_f16_e32 v69, 0xb836, v88
	v_pk_fma_f16 v67, 0x3bb2ba62, v26, v40 op_sel:[0,0,1] op_sel_hi:[1,1,0] neg_lo:[0,1,0] neg_hi:[0,1,0]
	v_pk_fma_f16 v68, 0x3bb2ba62, v26, v40 op_sel:[0,0,1] op_sel_hi:[1,1,0]
	v_lshrrev_b32_e32 v40, 16, v53
	v_add_f16_e32 v44, v52, v31
	v_fmamk_f16 v42, v30, 0xbacd, v69
	v_lshrrev_b32_e32 v50, 16, v55
	v_lshrrev_b32_e32 v49, 16, v28
	v_add_f16_e32 v40, v40, v11
	v_mul_f16_e32 v89, 0x3bb2, v26
	v_add_f16_e32 v42, v42, v34
	v_add_f16_e32 v34, v54, v44
	v_lshrrev_b32_e32 v44, 16, v57
	v_add_f16_e32 v40, v50, v40
	v_fma_f16 v41, v49, 0xb461, -v89
	v_pk_mul_f16 v43, 0xbacd3722, v30
	v_lshrrev_b32_e32 v50, 16, v30
	v_mul_f16_e32 v91, 0x3b29, v29
	v_add_f16_e32 v34, v56, v34
	v_add_f16_e32 v40, v44, v40
	v_lshrrev_b32_e32 v44, 16, v59
	v_add_f16_e32 v41, v41, v32
	v_pk_fma_f16 v73, 0x3b29b836, v29, v43 op_sel:[0,0,1] op_sel_hi:[1,1,0] neg_lo:[0,1,0] neg_hi:[0,1,0]
	v_pk_add_f16 v32, v6, v7 neg_lo:[0,1] neg_hi:[0,1]
	v_pk_fma_f16 v78, 0x3b29b836, v29, v43 op_sel:[0,0,1] op_sel_hi:[1,1,0]
	v_fma_f16 v43, v50, 0x3722, -v91
	v_add_f16_e32 v51, v58, v34
	v_add_f16_e32 v40, v44, v40
	v_lshrrev_b32_e32 v44, 16, v65
	v_pk_add_f16 v34, v7, v6
	v_lshrrev_b32_e32 v90, 16, v32
	v_add_f16_e32 v43, v43, v41
	v_add_f16_e32 v41, v64, v51
	;; [unrolled: 1-line block ×3, first 2 shown]
	v_lshrrev_b32_e32 v44, 16, v68
	v_pk_mul_f16 v83, 0xbbdd3b76, v34
	v_mul_f16_e32 v85, 0xb1e1, v90
	v_add_f16_e32 v41, v67, v41
	v_lshrrev_b32_e32 v51, 16, v34
	v_add_f16_e32 v40, v44, v40
	v_lshrrev_b32_e32 v44, 16, v78
	v_pk_fma_f16 v82, 0x35c8b1e1, v32, v83 op_sel:[0,0,1] op_sel_hi:[1,1,0]
	v_mul_f16_e32 v92, 0x35c8, v32
	v_fmamk_f16 v71, v34, 0xbbdd, v85
	v_pk_fma_f16 v83, 0x35c8b1e1, v32, v83 op_sel:[0,0,1] op_sel_hi:[1,1,0] neg_lo:[0,1,0] neg_hi:[0,1,0]
	v_add_f16_e32 v94, v73, v41
	v_add_f16_e32 v40, v44, v40
	v_lshrrev_b32_e32 v44, 16, v82
	v_fma_f16 v95, v51, 0x3b76, -v92
	v_add_f16_e32 v41, v71, v42
	v_add_f16_e32 v42, v83, v94
	global_wb scope:SCOPE_SE
	v_add_f16_e32 v44, v44, v40
	v_add_f16_e32 v43, v95, v43
	v_mul_lo_u16 v40, v38, 17
	s_barrier_signal -1
	s_barrier_wait -1
	global_inv scope:SCOPE_SE
	s_and_saveexec_b32 s0, vcc_lo
	s_cbranch_execz .LBB0_7
; %bb.6:
	v_mul_f16_e32 v101, 0xb836, v15
	v_alignbit_b32 v71, v11, v11, 16
	v_mul_f16_e32 v102, 0x3b29, v22
	v_alignbit_b32 v93, v93, v93, 16
	v_mul_f16_e32 v103, 0xbbf7, v19
	v_fmamk_f16 v94, v45, 0xbacd, v101
	v_pk_add_f16 v12, v12, v71 op_sel:[0,1] op_sel_hi:[1,0]
	v_fmamk_f16 v95, v18, 0x3722, v102
	v_mul_f16_e32 v100, 0xb836, v72
	v_mul_f16_e32 v104, 0x3a62, v23
	v_add_f16_e32 v94, v94, v31
	v_fmamk_f16 v96, v47, 0x2de8, v103
	v_pk_add_f16 v12, v93, v12
	v_mul_f16_e32 v97, 0x3b29, v75
	v_mul_f16_e32 v105, 0xb5c8, v25
	v_add_f16_e32 v93, v95, v94
	v_fma_f16 v94, v21, 0xbacd, -v100
	v_fmamk_f16 v95, v46, 0xb8d2, v104
	v_pk_add_f16 v12, v16, v12
	v_mul_f16_e32 v98, 0xbbf7, v76
	v_add_f16_e32 v16, v96, v93
	v_fma_f16 v93, v33, 0x3722, -v97
	v_fmamk_f16 v96, v48, 0x3b76, v105
	v_add_f16_e32 v94, v94, v11
	v_pk_add_f16 v12, v13, v12
	v_add_f16_e32 v13, v95, v16
	v_mul_f16_e32 v106, 0xb1e1, v26
	v_fma_f16 v95, v20, 0x2de8, -v98
	v_add_f16_e32 v93, v93, v94
	v_pk_add_f16 v16, v14, v12
	v_add_f16_e32 v12, v96, v13
	v_fmamk_f16 v13, v49, 0xbbdd, v106
	v_mul_f16_e32 v99, 0x3a62, v79
	v_mul_f16_e32 v107, 0x3964, v29
	;; [unrolled: 1-line block ×3, first 2 shown]
	v_add_f16_e32 v14, v95, v93
	v_add_f16_e32 v12, v13, v12
	v_fma_f16 v13, v24, 0xb8d2, -v99
	v_mul_f16_e32 v109, 0xb5c8, v81
	v_fmamk_f16 v93, v50, 0x39e9, v107
	v_fmamk_f16 v94, v45, 0xb8d2, v108
	v_mul_f16_e32 v110, 0x3bb2, v22
	v_add_f16_e32 v13, v13, v14
	v_fma_f16 v14, v27, 0x3b76, -v109
	v_add_f16_e32 v12, v93, v12
	v_add_f16_e32 v93, v94, v31
	v_fmamk_f16 v94, v18, 0xb461, v110
	v_mul_f16_e32 v111, 0xb5c8, v19
	v_add_f16_e32 v13, v14, v13
	v_mul_f16_e32 v113, 0xb1e1, v84
	v_mul_f16_e32 v114, 0xb836, v23
	v_add_f16_e32 v14, v94, v93
	v_fmamk_f16 v93, v47, 0x3b76, v111
	v_mul_f16_e32 v112, 0xbbb2, v32
	v_fma_f16 v95, v28, 0xbbdd, -v113
	v_mul_f16_e32 v115, 0x3964, v88
	v_mul_f16_e32 v116, 0x3bf7, v25
	v_add_f16_e32 v14, v93, v14
	v_fmamk_f16 v93, v46, 0xbacd, v114
	v_fmamk_f16 v94, v51, 0xb461, v112
	v_add_f16_e32 v13, v95, v13
	v_fma_f16 v95, v30, 0x39e9, -v115
	v_mul_f16_e32 v117, 0xb964, v26
	v_add_f16_e32 v14, v93, v14
	v_fmamk_f16 v93, v48, 0x2de8, v116
	v_mul_f16_e32 v118, 0xbbb2, v90
	v_mul_f16_e32 v119, 0xba62, v72
	v_add_f16_e32 v12, v94, v12
	v_add_f16_e32 v13, v95, v13
	;; [unrolled: 1-line block ×3, first 2 shown]
	v_fmamk_f16 v93, v49, 0x39e9, v117
	v_mul_f16_e32 v120, 0xb1e1, v29
	v_fma_f16 v94, v34, 0xb461, -v118
	v_fma_f16 v95, v21, 0xb8d2, -v119
	v_mul_f16_e32 v121, 0x3bb2, v75
	v_add_f16_e32 v14, v93, v14
	v_fmamk_f16 v93, v50, 0xbbdd, v120
	v_add_f16_e32 v13, v94, v13
	v_add_f16_e32 v94, v95, v11
	v_fma_f16 v95, v33, 0xb461, -v121
	v_mul_f16_e32 v122, 0xb5c8, v76
	v_mul_f16_e32 v124, 0xbbb2, v15
	v_add_f16_e32 v14, v93, v14
	v_mul_f16_e32 v125, 0xb836, v79
	v_add_f16_e32 v93, v95, v94
	v_fma_f16 v94, v20, 0x3b76, -v122
	v_fmamk_f16 v96, v45, 0xb461, v124
	v_mul_f16_e32 v126, 0x3836, v22
	v_mul_f16_e32 v127, 0x3bf7, v81
	v_mul_f16_e64 v129, 0x3964, v19
	v_add_f16_e32 v93, v94, v93
	v_fma_f16 v94, v24, 0xbacd, -v125
	v_add_f16_e32 v96, v96, v31
	v_fma_f16 v128, 0xbacd, v18, v126
	v_mul_f16_e32 v123, 0x3b29, v32
	v_mul_f16_e64 v130, 0xb964, v84
	v_add_f16_e32 v93, v94, v93
	v_fma_f16 v94, v27, 0x2de8, -v127
	v_add_f16_e64 v96, v128, v96
	v_fma_f16 v128, 0x39e9, v47, v129
	v_mul_f16_e64 v131, 0xbb29, v23
	v_fmamk_f16 v95, v51, 0x3722, v123
	v_add_f16_e32 v93, v94, v93
	v_fma_f16 v94, v28, 0x39e9, -v130
	v_mul_f16_e64 v132, 0xb1e1, v88
	v_add_f16_e64 v96, v128, v96
	v_fma_f16 v128, 0x3722, v46, v131
	v_mul_f16_e64 v133, 0xb1e1, v25
	v_add_f16_e32 v93, v94, v93
	v_fma_f16 v94, v30, 0xbbdd, -v132
	v_add_f16_e32 v14, v95, v14
	v_add_f16_e64 v95, v128, v96
	v_fma_f16 v96, 0xbbdd, v48, v133
	v_mul_f16_e64 v128, 0x3bf7, v26
	v_mul_f16_e64 v134, 0x3b29, v90
	;; [unrolled: 1-line block ×3, first 2 shown]
	v_add_f16_e32 v93, v94, v93
	v_add_f16_e32 v94, v96, v95
	v_fma_f16 v95, 0x2de8, v49, v128
	v_mul_f16_e64 v136, 0xb5c8, v29
	v_fma_f16 v96, v34, 0x3722, -v134
	v_fma_f16 v137, v21, 0xb461, -v135
	v_mul_f16_e64 v138, 0x3836, v75
	v_add_f16_e32 v94, v95, v94
	v_fma_f16 v95, 0x3b76, v50, v136
	v_add_f16_e32 v93, v96, v93
	v_add_f16_e64 v96, v137, v11
	v_fma_f16 v137, v33, 0xbacd, -v138
	v_mul_f16_e64 v139, 0x3964, v76
	v_mul_f16_e64 v141, 0xbbf7, v15
	v_add_f16_e32 v94, v95, v94
	v_mul_f16_e64 v144, 0xb1e1, v22
	v_add_f16_e64 v95, v137, v96
	v_fma_f16 v96, v20, 0x39e9, -v139
	v_mul_f16_e64 v137, 0xbb29, v79
	v_fma_f16 v143, 0x2de8, v45, v141
	v_mul_f16_e64 v145, 0xb1e1, v81
	v_fma_f16 v146, 0xbbdd, v18, v144
	v_add_f16_e32 v95, v96, v95
	v_fma_f16 v96, v24, 0x3722, -v137
	v_add_f16_e64 v143, v143, v31
	v_mul_f16_e64 v147, 0x3bb2, v19
	v_mul_f16_e64 v140, 0xba62, v32
	;; [unrolled: 1-line block ×3, first 2 shown]
	v_add_f16_e32 v95, v96, v95
	v_fma_f16 v96, v27, 0xbbdd, -v145
	v_add_f16_e64 v143, v146, v143
	v_fma_f16 v146, 0xb461, v47, v147
	v_mul_f16_e64 v149, 0x35c8, v23
	v_fma_f16 v142, 0xb8d2, v51, v140
	v_add_f16_e32 v95, v96, v95
	v_fma_f16 v96, v28, 0x2de8, -v148
	v_mul_f16_e64 v150, 0xb5c8, v88
	v_add_f16_e64 v143, v146, v143
	v_fma_f16 v146, 0x3b76, v46, v149
	v_mul_f16_e64 v151, 0xbb29, v25
	v_add_f16_e32 v95, v96, v95
	v_fma_f16 v96, v30, 0x3b76, -v150
	v_add_f16_e64 v94, v142, v94
	v_add_f16_e64 v142, v146, v143
	v_fma_f16 v143, 0x3722, v48, v151
	v_mul_f16_e64 v146, 0xb836, v26
	v_mul_f16_e64 v152, 0xbbf7, v72
	v_add_f16_e32 v95, v96, v95
	v_mul_f16_e64 v153, 0xba62, v90
	v_add_f16_e64 v96, v143, v142
	v_fma_f16 v142, 0xbacd, v49, v146
	v_mul_f16_e64 v143, 0x3a62, v29
	v_fma_f16 v154, v21, 0x2de8, -v152
	v_mul_f16_e64 v155, 0xb1e1, v75
	v_fma_f16 v156, v34, 0xb8d2, -v153
	v_add_f16_e64 v96, v142, v96
	v_fma_f16 v142, 0xb8d2, v50, v143
	v_add_f16_e64 v154, v154, v11
	v_fma_f16 v157, v33, 0xbbdd, -v155
	v_mul_f16_e64 v158, 0x3bb2, v76
	v_add_f16_e64 v95, v156, v95
	v_add_f16_e64 v96, v142, v96
	v_mul_f16_e64 v142, 0xbb29, v15
	v_add_f16_e64 v154, v157, v154
	v_fma_f16 v156, v20, 0xb461, -v158
	v_mul_f16_e64 v157, 0x35c8, v79
	v_mul_f16_e64 v161, 0xba62, v22
	v_fma_f16 v160, 0x3722, v45, v142
	v_mul_f16_e64 v162, 0xbb29, v81
	v_add_f16_e64 v154, v156, v154
	v_fma_f16 v156, v24, 0x3b76, -v157
	v_fma_f16 v163, 0xb8d2, v18, v161
	v_add_f16_e64 v160, v160, v31
	v_mul_f16_e64 v164, 0x31e1, v19
	v_mul_f16_e64 v165, 0xb836, v84
	v_add_f16_e64 v154, v156, v154
	v_fma_f16 v156, v27, 0x3722, -v162
	v_add_f16_e64 v160, v163, v160
	v_fma_f16 v163, 0xbbdd, v47, v164
	v_mul_f16_e64 v166, 0x3bb2, v23
	v_mul_f16_e64 v167, 0x3a62, v88
	v_add_f16_e64 v154, v156, v154
	v_fma_f16 v156, v28, 0xbacd, -v165
	v_mul_f16_e64 v159, 0x3964, v32
	v_add_f16_e64 v160, v163, v160
	v_fma_f16 v163, 0xb461, v46, v166
	v_mul_f16_e64 v168, 0x3964, v25
	v_add_f16_e64 v154, v156, v154
	v_fma_f16 v156, v30, 0xb8d2, -v167
	v_mul_f16_e64 v169, 0x3964, v90
	v_add_f16_e64 v160, v163, v160
	v_fma_f16 v163, 0x39e9, v48, v168
	v_mul_f16_e64 v170, 0xb5c8, v26
	v_fma_f16 v171, 0x39e9, v51, v159
	v_add_f16_e64 v154, v156, v154
	v_fma_f16 v156, v34, 0x39e9, -v169
	v_add_f16_e64 v160, v163, v160
	v_fma_f16 v163, 0x3b76, v49, v170
	v_add_f16_e64 v96, v171, v96
	v_mul_f16_e64 v171, 0xbbf7, v29
	v_mul_f16_e64 v172, 0xbb29, v72
	v_add_f16_e64 v72, v156, v154
	v_mul_f16_e64 v156, 0x39e9, v45
	v_add_f16_e64 v154, v163, v160
	v_fma_f16 v160, 0x2de8, v50, v171
	v_fma_f16 v163, v21, 0x3722, -v172
	v_mul_f16_e32 v75, 0xba62, v75
	v_mul_f16_e64 v173, 0x2de8, v18
	v_add_f16_e64 v74, v74, v156
	v_add_f16_e64 v154, v160, v154
	;; [unrolled: 1-line block ×3, first 2 shown]
	v_fma_f16 v160, v33, 0xb8d2, -v75
	v_add_f16_e64 v77, v77, v173
	v_add_f16_e32 v74, v74, v31
	v_mul_f16_e64 v163, 0xb8d2, v47
	v_mul_f16_e64 v173, 0xb836, v32
	v_add_f16_e64 v156, v160, v156
	v_mul_f16_e64 v160, 0xbbdd, v46
	v_add_f16_e32 v74, v77, v74
	v_add_f16_e64 v80, v80, v163
	v_fma_f16 v163, 0xbacd, v51, v173
	v_bfi_b32 v52, 0xffff, v53, v52
	v_add_f16_e64 v86, v86, v160
	v_bfi_b32 v53, 0xffff, v55, v54
	v_add_f16_e32 v80, v80, v74
	v_add_f16_e64 v74, v163, v154
	v_mul_f16_e64 v154, 0xbacd, v48
	v_bfi_b32 v54, 0xffff, v57, v56
	v_mul_f16_e32 v55, 0xbbdd, v34
	v_add_f16_e32 v80, v86, v80
	v_mul_f16_e32 v86, 0x3b76, v21
	v_add_f16_e64 v87, v87, v154
	v_mul_f16_e64 v154, 0x39e9, v33
	v_fma_f16 v57, v46, 0xb8d2, -v104
	v_bfi_b32 v58, 0xffff, v59, v58
	v_sub_f16_e32 v60, v86, v60
	v_add_f16_e32 v80, v87, v80
	v_sub_f16_e64 v61, v154, v61
	v_mul_f16_e32 v87, 0x3722, v20
	v_mul_f16_e32 v86, 0xb461, v49
	v_add_f16_e32 v60, v60, v11
	v_sub_f16_e32 v55, v55, v85
	v_fmac_f16_e32 v100, 0xbacd, v21
	v_sub_f16_e32 v62, v87, v62
	v_mul_f16_e32 v87, 0x2de8, v24
	v_add_f16_e32 v60, v61, v60
	v_add_f16_e32 v86, v89, v86
	v_mul_f16_e32 v61, 0xbbf7, v88
	v_mul_f16_e32 v88, 0x3722, v50
	v_fmac_f16_e32 v97, 0x3722, v33
	v_add_f16_e32 v60, v62, v60
	v_sub_f16_e32 v62, v87, v63
	v_mul_f16_e32 v63, 0xb461, v27
	v_add_f16_e32 v80, v86, v80
	v_add_f16_e32 v88, v91, v88
	v_fma_f16 v87, v45, 0xbacd, -v101
	v_add_f16_e32 v60, v62, v60
	v_sub_f16_e32 v62, v63, v70
	v_mul_f16_e32 v70, 0xb8d2, v28
	v_add_f16_e32 v80, v88, v80
	v_add_f16_e32 v87, v87, v31
	v_fma_f16 v88, v18, 0x3722, -v102
	v_add_f16_e32 v60, v62, v60
	v_sub_f16_e32 v66, v70, v66
	v_mul_f16_e32 v70, 0xbacd, v30
	v_fmac_f16_e32 v98, 0x2de8, v20
	v_fmac_f16_e32 v99, 0xb8d2, v24
	;; [unrolled: 1-line block ×3, first 2 shown]
	v_add_f16_e32 v60, v66, v60
	v_sub_f16_e32 v66, v70, v69
	v_add_f16_e32 v69, v88, v87
	v_fma_f16 v70, v47, 0x2de8, -v103
	v_fmac_f16_e32 v121, 0xb461, v33
	v_fmac_f16_e32 v122, 0x3b76, v20
	v_add_f16_e32 v59, v66, v60
	v_bfi_b32 v60, 0xffff, v65, v64
	v_add_f16_e32 v56, v70, v69
	v_bfi_b32 v64, 0xffff, v68, v67
	v_add_f16_e32 v67, v100, v11
	v_add_f16_e32 v55, v55, v59
	v_fma_f16 v59, v45, 0xb8d2, -v108
	v_add_f16_e32 v56, v57, v56
	v_fma_f16 v57, v48, 0x3b76, -v105
	;; [unrolled: 2-line block ×3, first 2 shown]
	v_add_f16_e32 v59, v59, v31
	v_mul_f16_e32 v76, 0x31e1, v76
	v_add_f16_e32 v56, v57, v56
	v_fma_f16 v57, v49, 0xbbdd, -v106
	v_add_f16_e32 v67, v98, v67
	v_add_f16_e32 v59, v68, v59
	v_fma_f16 v68, v47, 0x3b76, -v111
	v_fmac_f16_e32 v125, 0xbacd, v24
	v_add_f16_e32 v56, v57, v56
	v_fma_f16 v57, v50, 0x39e9, -v107
	v_fma_f16 v77, v20, 0xbbdd, -v76
	v_add_f16_e32 v59, v68, v59
	v_add_f16_e32 v68, v119, v11
	v_mul_f16_e32 v79, 0x3bb2, v79
	v_add_f16_e32 v56, v57, v56
	v_fma_f16 v57, v51, 0xb461, -v112
	v_fmac_f16_e32 v127, 0x2de8, v27
	v_add_f16_e32 v68, v121, v68
	v_fma_f16 v69, v45, 0xb461, -v124
	v_add_f16_e64 v77, v77, v156
	v_add_f16_e32 v56, v57, v56
	v_add_f16_e32 v57, v99, v67
	v_fma_f16 v67, v46, 0xbacd, -v114
	v_add_f16_e32 v68, v122, v68
	v_fma_f16 v156, v24, 0xb461, -v79
	v_mul_f16_e32 v81, 0x3964, v81
	v_fmac_f16_e64 v130, 0x39e9, v28
	v_add_f16_e32 v59, v67, v59
	v_fma_f16 v67, v48, 0x2de8, -v116
	v_add_f16_e32 v68, v125, v68
	v_add_f16_e32 v69, v69, v31
	v_fma_f16 v70, v18, 0xbacd, -v126
	v_add_f16_e64 v77, v156, v77
	v_add_f16_e32 v59, v67, v59
	v_fma_f16 v67, v49, 0x39e9, -v117
	v_add_f16_e32 v68, v127, v68
	v_fma_f16 v156, v27, 0x39e9, -v81
	v_mul_f16_e32 v84, 0xb5c8, v84
	v_bfi_b32 v65, 0xffff, v78, v73
	v_add_f16_e32 v59, v67, v59
	v_fma_f16 v67, v50, 0xbbdd, -v120
	v_add_f16_e64 v77, v156, v77
	v_fma_f16 v156, v28, 0x3b76, -v84
	v_fma_f16 v73, v45, 0x2de8, -v141
	;; [unrolled: 1-line block ×3, first 2 shown]
	v_add_f16_e32 v59, v67, v59
	v_fma_f16 v67, v51, 0x3722, -v123
	v_add_f16_e64 v77, v156, v77
	v_add_f16_e32 v73, v73, v31
	v_fma_f16 v78, v18, 0xbbdd, -v144
	v_mul_f16_e32 v63, 0xb836, v90
	v_add_f16_e32 v59, v67, v59
	v_add_f16_e64 v67, v130, v68
	v_add_f16_e32 v68, v70, v69
	v_fma_f16 v69, v47, 0x39e9, -v129
	v_add_f16_e32 v77, v86, v77
	v_mul_f16_e32 v86, 0x3b76, v51
	v_add_f16_e32 v73, v78, v73
	v_fma_f16 v78, v47, 0xb461, -v147
	v_add_f16_e32 v68, v69, v68
	v_fma_f16 v69, v46, 0x3722, -v131
	v_add_f16_e32 v86, v92, v86
	v_fma_f16 v62, v34, 0xbacd, -v63
	v_add_f16_e32 v73, v78, v73
	v_fma_f16 v78, v46, 0x3b76, -v149
	v_add_f16_e32 v68, v69, v68
	v_fma_f16 v69, v48, 0xbbdd, -v133
	v_fmac_f16_e64 v152, 0x2de8, v21
	v_fma_f16 v45, v45, 0x3722, -v142
	v_pk_add_f16 v9, v9, v16
	v_add_f16_e32 v62, v62, v77
	v_add_f16_e32 v68, v69, v68
	v_fma_f16 v69, v49, 0x2de8, -v128
	v_add_f16_e32 v77, v86, v80
	v_add_f16_e32 v73, v78, v73
	v_fma_f16 v78, v48, 0x3722, -v151
	v_add_f16_e64 v80, v152, v11
	v_add_f16_e32 v68, v69, v68
	v_fma_f16 v69, v50, 0x3b76, -v136
	v_fmac_f16_e64 v155, 0xbbdd, v33
	v_add_f16_e32 v31, v45, v31
	v_fma_f16 v45, v18, 0xb8d2, -v161
	v_pk_add_f16 v9, v10, v9
	v_add_f16_e32 v68, v69, v68
	v_fma_f16 v69, v51, 0xb8d2, -v140
	v_fmac_f16_e64 v158, 0xb461, v20
	v_add_f16_e32 v31, v45, v31
	v_fma_f16 v47, v47, 0xbbdd, -v164
	v_pk_add_f16 v6, v6, v9
	v_add_f16_e32 v68, v69, v68
	v_add_f16_e32 v69, v78, v73
	v_fma_f16 v73, v49, 0xbacd, -v146
	v_add_f16_e64 v78, v155, v80
	v_fmac_f16_e64 v157, 0x3b76, v24
	v_add_f16_e32 v31, v47, v31
	v_fma_f16 v16, v46, 0xb461, -v166
	v_add_f16_e32 v69, v73, v69
	v_fma_f16 v73, v50, 0xb8d2, -v143
	v_add_f16_e64 v78, v158, v78
	v_pk_add_f16 v6, v7, v6
	v_fmac_f16_e64 v135, 0xb461, v21
	v_fmac_f16_e64 v162, 0x3722, v27
	v_add_f16_e32 v69, v73, v69
	v_add_f16_e64 v73, v157, v78
	v_fmac_f16_e64 v172, 0x3722, v21
	v_add_f16_e32 v10, v16, v31
	v_fma_f16 v16, v48, 0x39e9, -v168
	v_pk_add_f16 v4, v4, v6
	v_add_f16_e64 v70, v135, v11
	v_add_f16_e64 v73, v162, v73
	v_add_f16_e64 v11, v172, v11
	v_fmac_f16_e32 v75, 0xb8d2, v33
	v_fmac_f16_e64 v165, 0xbacd, v28
	v_add_f16_e32 v9, v16, v10
	v_fma_f16 v10, v49, 0x3b76, -v170
	v_pk_add_f16 v4, v5, v4
	v_fmac_f16_e64 v138, 0xbacd, v33
	v_add_f16_e32 v11, v75, v11
	v_fmac_f16_e32 v76, 0xbbdd, v20
	v_add_f16_e64 v33, v165, v73
	v_fmac_f16_e64 v167, 0xb8d2, v30
	v_add_f16_e32 v9, v10, v9
	v_fma_f16 v10, v50, 0x2de8, -v171
	v_pk_add_f16 v2, v2, v4
	v_add_f16_e32 v11, v76, v11
	v_fmac_f16_e32 v79, 0xb461, v24
	v_add_f16_e64 v7, v167, v33
	v_fmac_f16_e64 v169, 0x39e9, v34
	v_add_f16_e32 v9, v10, v9
	v_fma_f16 v5, v51, 0xbacd, -v173
	v_pk_add_f16 v2, v3, v2
	v_add_f16_e32 v11, v79, v11
	v_fmac_f16_e32 v81, 0x39e9, v27
	v_add_f16_e64 v4, v169, v7
	v_add_f16_e32 v5, v5, v9
	v_and_b32_e32 v3, 0xffff, v40
	v_pk_add_f16 v7, v52, v71
	v_pk_mul_f16 v9, 0xbbdd, v21 op_sel_hi:[0,1]
	v_pk_add_f16 v0, v0, v2
	v_add_f16_e32 v6, v81, v11
	v_add_lshl_u32 v2, v37, v3, 2
	v_pk_add_f16 v3, v53, v7
	v_pk_fma_f16 v7, 0xb1e1, v15, v9 op_sel:[0,0,1] op_sel_hi:[0,1,0] neg_lo:[0,1,0] neg_hi:[0,1,0]
	v_pk_mul_f16 v11, 0x35c8, v22 op_sel_hi:[0,1]
	v_pk_add_f16 v0, v1, v0
	v_pk_fma_f16 v1, 0xb1e1, v15, v9 op_sel:[0,0,1] op_sel_hi:[0,1,0]
	v_pk_mul_f16 v15, 0xbacd, v20 op_sel_hi:[0,1]
	v_pk_add_f16 v7, v7, v71
	v_pk_fma_f16 v9, 0x3b76, v18, v11 op_sel_hi:[0,1,1] neg_lo:[0,0,1] neg_hi:[0,0,1]
	v_pk_fma_f16 v11, 0x3b76, v18, v11 op_sel_hi:[0,1,1]
	v_pk_add_f16 v1, v1, v71
	v_pk_mul_f16 v16, 0x39e9, v24 op_sel_hi:[0,1]
	v_add_f16_e64 v70, v138, v70
	v_pk_add_f16 v7, v9, v7
	v_pk_fma_f16 v9, 0xb836, v19, v15 op_sel:[0,0,1] op_sel_hi:[0,1,0] neg_lo:[0,1,0] neg_hi:[0,1,0]
	v_pk_add_f16 v1, v11, v1
	v_pk_fma_f16 v11, 0xb836, v19, v15 op_sel:[0,0,1] op_sel_hi:[0,1,0]
	v_fmac_f16_e64 v139, 0x39e9, v20
	v_pk_add_f16 v3, v54, v3
	v_pk_add_f16 v7, v9, v7
	v_pk_fma_f16 v9, 0x3964, v23, v16 op_sel:[0,0,1] op_sel_hi:[0,1,0] neg_lo:[0,1,0] neg_hi:[0,1,0]
	v_pk_mul_f16 v15, 0xb8d2, v27 op_sel_hi:[0,1]
	v_pk_add_f16 v1, v11, v1
	v_pk_fma_f16 v11, 0x3964, v23, v16 op_sel:[0,0,1] op_sel_hi:[0,1,0]
	v_add_f16_e64 v70, v139, v70
	v_fmac_f16_e64 v137, 0x3722, v24
	v_pk_add_f16 v3, v58, v3
	v_pk_add_f16 v7, v9, v7
	v_pk_fma_f16 v9, 0xba62, v25, v15 op_sel:[0,0,1] op_sel_hi:[0,1,0] neg_lo:[0,1,0] neg_hi:[0,1,0]
	v_pk_mul_f16 v16, 0x3722, v28 op_sel_hi:[0,1]
	v_pk_add_f16 v1, v11, v1
	v_pk_fma_f16 v11, 0xba62, v25, v15 op_sel:[0,0,1] op_sel_hi:[0,1,0]
	v_fmac_f16_e32 v109, 0x3b76, v27
	v_add_f16_e64 v70, v137, v70
	v_fmac_f16_e64 v145, 0xbbdd, v27
	v_pk_add_f16 v3, v60, v3
	v_pk_add_f16 v7, v9, v7
	v_pk_fma_f16 v9, 0x3b29, v26, v16 op_sel:[0,0,1] op_sel_hi:[0,1,0] neg_lo:[0,1,0] neg_hi:[0,1,0]
	v_pk_mul_f16 v15, 0xb461, v30 op_sel_hi:[0,1]
	v_pk_add_f16 v1, v11, v1
	v_pk_fma_f16 v11, 0x3b29, v26, v16 op_sel:[0,0,1] op_sel_hi:[0,1,0]
	v_add_f16_e32 v57, v109, v57
	v_fmac_f16_e32 v113, 0xbbdd, v28
	v_add_f16_e64 v70, v145, v70
	v_fmac_f16_e64 v148, 0x2de8, v28
	v_fmac_f16_e32 v84, 0x3b76, v28
	v_pk_add_f16 v3, v64, v3
	v_pk_add_f16 v7, v9, v7
	v_pk_fma_f16 v9, 0xbbb2, v29, v15 op_sel:[0,0,1] op_sel_hi:[0,1,0] neg_lo:[0,1,0] neg_hi:[0,1,0]
	v_pk_mul_f16 v16, 0x2de8, v34 op_sel_hi:[0,1]
	v_pk_add_f16 v1, v11, v1
	v_pk_fma_f16 v11, 0xbbb2, v29, v15 op_sel:[0,0,1] op_sel_hi:[0,1,0]
	v_add_f16_e32 v57, v113, v57
	v_fmac_f16_e32 v115, 0x39e9, v30
	v_fmac_f16_e64 v132, 0xbbdd, v30
	v_bfi_b32 v66, 0xffff, v82, v83
	v_add_f16_e64 v70, v148, v70
	v_fmac_f16_e64 v150, 0x3b76, v30
	v_add_f16_e32 v6, v84, v6
	v_fmac_f16_e32 v61, 0x2de8, v30
	v_pk_add_f16 v3, v65, v3
	v_pk_add_f16 v7, v9, v7
	v_pk_fma_f16 v9, 0x3bf7, v32, v16 op_sel:[0,0,1] op_sel_hi:[0,1,0] neg_lo:[0,1,0] neg_hi:[0,1,0]
	v_pk_add_f16 v1, v11, v1
	v_pk_fma_f16 v11, 0x3bf7, v32, v16 op_sel:[0,0,1] op_sel_hi:[0,1,0]
	v_add_f16_e32 v57, v115, v57
	v_fmac_f16_e32 v118, 0xb461, v34
	v_add_f16_e64 v67, v132, v67
	v_fmac_f16_e64 v134, 0x3722, v34
	v_add_f16_e64 v70, v150, v70
	v_fmac_f16_e64 v153, 0xb8d2, v34
	v_fma_f16 v45, v51, 0x39e9, -v159
	v_add_f16_e32 v6, v61, v6
	v_fmac_f16_e32 v63, 0xbacd, v34
	v_pk_add_f16 v3, v66, v3
	v_pk_add_f16 v0, v17, v0
	v_pack_b32_f16 v12, v13, v12
	v_pk_add_f16 v7, v9, v7
	v_pk_add_f16 v1, v11, v1
	v_add_f16_e32 v57, v118, v57
	v_add_f16_e64 v67, v134, v67
	v_add_f16_e64 v70, v153, v70
	v_add_f16_e32 v10, v45, v69
	v_add_f16_e32 v6, v63, v6
	v_alignbit_b32 v15, v77, v3, 16
	v_pack_b32_f16 v3, v55, v3
	v_pack_b32_f16 v16, v72, v96
	;; [unrolled: 1-line block ×5, first 2 shown]
	ds_store_2addr_b32 v2, v0, v12 offset1:7
	v_alignbit_b32 v0, v7, v1, 16
	v_alignbit_b32 v1, v1, v7, 16
	v_pack_b32_f16 v7, v67, v59
	v_pack_b32_f16 v12, v57, v56
	v_pack_b32_f16 v4, v4, v10
	v_pack_b32_f16 v10, v70, v68
	v_pack_b32_f16 v5, v6, v5
	v_perm_b32 v6, v43, v44, 0x5040100
	v_perm_b32 v14, v42, v41, 0x5040100
	ds_store_2addr_b32 v2, v3, v15 offset0:1 offset1:2
	ds_store_2addr_b32 v2, v9, v16 offset0:3 offset1:4
	;; [unrolled: 1-line block ×7, first 2 shown]
	ds_store_b32 v2, v14 offset:64
.LBB0_7:
	s_wait_alu 0xfffe
	s_or_b32 exec_lo, exec_lo, s0
	v_add_co_u32 v26, null, v38, 34
	v_lshlrev_b32_e32 v25, 4, v38
	s_load_b128 s[4:7], s[4:5], 0x0
	global_wb scope:SCOPE_SE
	s_wait_dscnt 0x0
	v_and_b32_e32 v4, 0xff, v26
	s_wait_kmcnt 0x0
	s_barrier_signal -1
	s_barrier_wait -1
	global_inv scope:SCOPE_SE
	global_load_b128 v[0:3], v25, s[2:3]
	v_mul_lo_u16 v4, 0xf1, v4
	v_add_lshl_u32 v45, v37, v38, 2
	v_lshlrev_b32_e32 v19, 3, v38
	v_lshlrev_b32_e32 v30, 3, v26
	s_delay_alu instid0(VALU_DEP_4) | instskip(NEXT) | instid1(VALU_DEP_3)
	v_lshrrev_b16 v4, 12, v4
	v_add_nc_u32_e32 v29, 0x88, v19
	s_delay_alu instid0(VALU_DEP_2) | instskip(NEXT) | instid1(VALU_DEP_1)
	v_mul_lo_u16 v4, v4, 17
	v_sub_nc_u16 v27, v26, v4
	s_delay_alu instid0(VALU_DEP_1) | instskip(SKIP_1) | instid1(VALU_DEP_2)
	v_lshlrev_b16 v4, 2, v27
	v_and_b32_e32 v27, 0xff, v27
	v_and_b32_e32 v4, 0xfc, v4
	s_delay_alu instid0(VALU_DEP_2) | instskip(NEXT) | instid1(VALU_DEP_2)
	v_add_lshl_u32 v46, v37, v27, 2
	v_lshlrev_b32_e32 v4, 2, v4
	global_load_b128 v[4:7], v4, s[2:3]
	ds_load_2addr_b32 v[17:18], v45 offset1:17
	ds_load_2addr_b32 v[9:10], v45 offset0:34 offset1:51
	ds_load_2addr_b32 v[21:22], v45 offset0:102 offset1:119
	;; [unrolled: 1-line block ×6, first 2 shown]
	ds_load_b32 v20, v45 offset:952
	v_add_co_u32 v25, s0, s2, v25
	s_wait_alu 0xf1ff
	v_add_co_ci_u32_e64 v28, null, s3, 0, s0
	global_wb scope:SCOPE_SE
	s_wait_loadcnt_dscnt 0x0
	v_sub_co_u32 v25, s0, v25, v19
	s_wait_alu 0xf1ff
	v_subrev_co_ci_u32_e64 v26, s0, 0, v28, s0
	s_barrier_signal -1
	s_barrier_wait -1
	global_inv scope:SCOPE_SE
	v_lshrrev_b32_e32 v28, 16, v17
	v_lshrrev_b32_e32 v31, 16, v10
	;; [unrolled: 1-line block ×19, first 2 shown]
	s_delay_alu instid0(VALU_DEP_4)
	v_mul_f16_e32 v27, v31, v61
	v_mul_f16_e32 v57, v10, v61
	;; [unrolled: 1-line block ×16, first 2 shown]
	v_fma_f16 v10, v10, v0, -v27
	v_fmac_f16_e32 v57, v31, v0
	v_fma_f16 v21, v21, v1, -v62
	v_fmac_f16_e32 v63, v32, v1
	;; [unrolled: 2-line block ×8, first 2 shown]
	v_add_f16_e32 v27, v17, v10
	v_add_f16_e32 v31, v21, v12
	v_sub_f16_e32 v32, v57, v67
	v_sub_f16_e32 v34, v10, v21
	;; [unrolled: 1-line block ×3, first 2 shown]
	v_add_f16_e32 v49, v10, v23
	v_sub_f16_e32 v50, v21, v10
	v_sub_f16_e32 v51, v12, v23
	v_add_f16_e32 v62, v28, v57
	v_add_f16_e32 v64, v63, v65
	v_sub_f16_e32 v68, v57, v63
	v_sub_f16_e32 v70, v67, v65
	v_add_f16_e32 v72, v57, v67
	v_sub_f16_e32 v57, v63, v57
	v_sub_f16_e32 v74, v65, v67
	v_add_f16_e32 v76, v18, v15
	v_add_f16_e32 v77, v22, v13
	;; [unrolled: 1-line block ×5, first 2 shown]
	v_sub_f16_e32 v10, v10, v23
	v_sub_f16_e32 v66, v21, v12
	;; [unrolled: 1-line block ×6, first 2 shown]
	v_add_f16_e32 v85, v47, v69
	v_sub_f16_e32 v87, v22, v13
	v_add_f16_e32 v21, v27, v21
	v_fma_f16 v27, -0.5, v31, v17
	v_add_f16_e32 v31, v34, v48
	v_fma_f16 v17, -0.5, v49, v17
	;; [unrolled: 2-line block ×3, first 2 shown]
	v_add_f16_e32 v50, v68, v70
	v_add_f16_e32 v51, v57, v74
	;; [unrolled: 1-line block ×3, first 2 shown]
	v_fma_f16 v57, -0.5, v77, v18
	v_fmac_f16_e32 v18, -0.5, v82
	v_fma_f16 v68, -0.5, v86, v47
	v_fmac_f16_e32 v47, -0.5, v90
	v_sub_f16_e32 v33, v63, v65
	v_fmac_f16_e32 v28, -0.5, v72
	v_sub_f16_e32 v81, v24, v13
	v_sub_f16_e32 v84, v13, v24
	;; [unrolled: 1-line block ×6, first 2 shown]
	v_add_f16_e32 v48, v62, v63
	v_add_f16_e32 v64, v85, v71
	;; [unrolled: 1-line block ×3, first 2 shown]
	v_fmamk_f16 v21, v32, 0x3b9c, v27
	v_fmac_f16_e32 v27, 0xbb9c, v32
	v_fmamk_f16 v72, v10, 0xbb9c, v49
	v_fmac_f16_e32 v49, 0x3b9c, v10
	v_add_f16_e32 v13, v22, v13
	v_fmamk_f16 v22, v78, 0x3b9c, v57
	v_fmac_f16_e32 v57, 0xbb9c, v78
	v_fmamk_f16 v76, v79, 0xbb9c, v18
	v_fmac_f16_e32 v18, 0x3b9c, v79
	;; [unrolled: 2-line block ×5, first 2 shown]
	v_add_f16_e32 v62, v80, v81
	v_add_f16_e32 v63, v83, v84
	;; [unrolled: 1-line block ×5, first 2 shown]
	v_fmac_f16_e32 v21, 0x38b4, v33
	v_fmac_f16_e32 v27, 0xb8b4, v33
	;; [unrolled: 1-line block ×13, first 2 shown]
	v_add_f16_e32 v12, v12, v23
	v_add_f16_e32 v23, v48, v67
	;; [unrolled: 1-line block ×4, first 2 shown]
	v_fmac_f16_e32 v21, 0x34f2, v31
	v_fmac_f16_e32 v27, 0x34f2, v31
	;; [unrolled: 1-line block ×9, first 2 shown]
	v_lshrrev_b32_e32 v65, 16, v4
	v_lshrrev_b32_e32 v64, 16, v5
	;; [unrolled: 1-line block ×4, first 2 shown]
	v_fmac_f16_e32 v71, 0x34f2, v34
	v_fmac_f16_e32 v17, 0x34f2, v34
	;; [unrolled: 1-line block ×4, first 2 shown]
	v_pack_b32_f16 v12, v12, v23
	v_pack_b32_f16 v10, v10, v13
	;; [unrolled: 1-line block ×5, first 2 shown]
	v_mul_f16_e32 v27, v53, v65
	v_mul_f16_e32 v31, v54, v64
	;; [unrolled: 1-line block ×6, first 2 shown]
	v_sub_f16_e32 v89, v75, v73
	v_fmamk_f16 v73, v15, 0xbb9c, v68
	v_fmac_f16_e32 v68, 0x3b9c, v15
	v_fmac_f16_e32 v77, 0xb8b4, v15
	v_pack_b32_f16 v15, v71, v74
	v_pack_b32_f16 v17, v17, v28
	v_mul_f16_e32 v28, v16, v65
	v_mul_f16_e32 v48, v20, v62
	ds_store_2addr_b32 v45, v12, v13 offset1:17
	ds_store_2addr_b32 v45, v15, v17 offset0:34 offset1:51
	ds_store_2addr_b32 v45, v21, v10 offset0:68 offset1:85
	v_fma_f16 v10, v16, v4, -v27
	v_fma_f16 v11, v11, v5, -v31
	v_fmac_f16_e32 v32, v54, v5
	v_fma_f16 v12, v14, v6, -v33
	v_fmac_f16_e32 v34, v55, v6
	;; [unrolled: 2-line block ×3, first 2 shown]
	v_fmac_f16_e32 v48, v56, v7
	v_add_f16_e32 v14, v9, v10
	v_add_f16_e32 v15, v11, v12
	;; [unrolled: 1-line block ×4, first 2 shown]
	v_sub_f16_e32 v20, v10, v11
	v_sub_f16_e32 v21, v13, v12
	v_add_f16_e32 v47, v52, v28
	v_add_f16_e32 v54, v28, v48
	v_sub_f16_e32 v16, v28, v48
	v_sub_f16_e32 v31, v11, v10
	;; [unrolled: 1-line block ×5, first 2 shown]
	v_add_f16_e32 v11, v14, v11
	v_fma_f16 v14, -0.5, v15, v9
	v_fmac_f16_e32 v9, -0.5, v27
	v_fma_f16 v27, -0.5, v49, v52
	v_sub_f16_e32 v17, v32, v34
	v_add_f16_e32 v15, v20, v21
	v_add_f16_e32 v21, v47, v32
	v_fmac_f16_e32 v52, -0.5, v54
	v_sub_f16_e32 v51, v28, v32
	v_sub_f16_e32 v53, v48, v34
	v_add_f16_e32 v20, v31, v33
	v_add_f16_e32 v11, v11, v12
	v_fmamk_f16 v12, v16, 0x3b9c, v14
	v_fmamk_f16 v33, v10, 0xbb9c, v27
	v_sub_f16_e32 v28, v32, v28
	v_sub_f16_e32 v55, v34, v48
	v_fmamk_f16 v32, v17, 0xbb9c, v9
	v_fmac_f16_e32 v9, 0x3b9c, v17
	v_add_f16_e32 v21, v21, v34
	v_fmamk_f16 v34, v50, 0x3b9c, v52
	v_fmac_f16_e32 v52, 0xbb9c, v50
	v_fmac_f16_e32 v14, 0xbb9c, v16
	;; [unrolled: 1-line block ×3, first 2 shown]
	v_add_f16_e32 v70, v88, v89
	v_fmac_f16_e32 v73, 0xb8b4, v87
	v_fmac_f16_e32 v68, 0x38b4, v87
	v_add_f16_e32 v31, v51, v53
	v_fmac_f16_e32 v12, 0x38b4, v17
	v_fmac_f16_e32 v33, 0xb8b4, v50
	;; [unrolled: 3-line block ×3, first 2 shown]
	v_fmac_f16_e32 v34, 0xb8b4, v10
	v_fmac_f16_e32 v52, 0x38b4, v10
	v_fmac_f16_e32 v14, 0xb8b4, v17
	v_fmac_f16_e32 v27, 0x38b4, v50
	v_fmac_f16_e32 v73, 0x34f2, v70
	v_fmac_f16_e32 v77, 0x34f2, v69
	v_fmac_f16_e32 v68, 0x34f2, v70
	v_add_f16_e32 v11, v11, v13
	v_add_f16_e32 v13, v21, v48
	v_fmac_f16_e32 v12, 0x34f2, v15
	v_fmac_f16_e32 v33, 0x34f2, v31
	;; [unrolled: 1-line block ×8, first 2 shown]
	v_pack_b32_f16 v22, v22, v73
	v_pack_b32_f16 v23, v76, v77
	;; [unrolled: 1-line block ×8, first 2 shown]
	ds_store_2addr_b32 v45, v22, v23 offset0:102 offset1:119
	ds_store_2addr_b32 v45, v18, v24 offset0:136 offset1:153
	;; [unrolled: 1-line block ×4, first 2 shown]
	ds_store_b32 v46, v13 offset:952
	global_wb scope:SCOPE_SE
	s_wait_dscnt 0x0
	s_barrier_signal -1
	s_barrier_wait -1
	global_inv scope:SCOPE_SE
	s_clause 0x1
	global_load_b64 v[13:14], v[25:26], off offset:272
	global_load_b64 v[15:16], v29, s[2:3] offset:272
	v_add_nc_u32_e32 v9, 0x198, v19
	v_add_nc_u32_e32 v10, 0x220, v19
	s_clause 0x2
	global_load_b64 v[17:18], v30, s[2:3] offset:272
	global_load_b64 v[11:12], v9, s[2:3] offset:272
	;; [unrolled: 1-line block ×3, first 2 shown]
	ds_load_2addr_b32 v[25:26], v45 offset1:17
	ds_load_2addr_b32 v[21:22], v45 offset0:68 offset1:85
	ds_load_2addr_b32 v[19:20], v45 offset0:170 offset1:187
	;; [unrolled: 1-line block ×6, first 2 shown]
	ds_load_b32 v33, v45 offset:952
	v_lshl_add_u32 v47, v38, 2, v39
	v_add_nc_u32_e32 v83, v36, v39
	s_wait_dscnt 0x7
	v_lshrrev_b32_e32 v73, 16, v25
	s_wait_dscnt 0x6
	v_lshrrev_b32_e32 v34, 16, v22
	;; [unrolled: 2-line block ×4, first 2 shown]
	v_lshrrev_b32_e32 v68, 16, v20
	v_lshrrev_b32_e32 v74, 16, v28
	s_wait_dscnt 0x2
	v_lshrrev_b32_e32 v75, 16, v29
	s_wait_dscnt 0x1
	v_lshrrev_b32_e32 v76, 16, v31
	v_lshrrev_b32_e32 v77, 16, v30
	v_lshrrev_b32_e32 v78, 16, v32
	s_wait_dscnt 0x0
	v_lshrrev_b32_e32 v79, 16, v33
	v_lshrrev_b32_e32 v72, 16, v26
	;; [unrolled: 1-line block ×5, first 2 shown]
	s_wait_loadcnt 0x4
	v_lshrrev_b32_e32 v57, 16, v13
	v_lshrrev_b32_e32 v56, 16, v14
	s_wait_loadcnt 0x3
	v_lshrrev_b32_e32 v55, 16, v15
	v_lshrrev_b32_e32 v54, 16, v16
	;; [unrolled: 3-line block ×5, first 2 shown]
	v_mul_f16_e32 v80, v34, v57
	v_mul_f16_e32 v81, v22, v57
	;; [unrolled: 1-line block ×20, first 2 shown]
	v_fma_f16 v22, v22, v13, -v80
	v_fmac_f16_e32 v81, v34, v13
	v_fma_f16 v19, v19, v14, -v82
	v_fmac_f16_e32 v84, v66, v14
	;; [unrolled: 2-line block ×10, first 2 shown]
	v_add_f16_e32 v33, v25, v22
	v_add_f16_e32 v34, v22, v19
	;; [unrolled: 1-line block ×8, first 2 shown]
	v_sub_f16_e32 v67, v81, v84
	v_sub_f16_e32 v85, v27, v20
	v_add_f16_e32 v27, v23, v28
	v_add_f16_e32 v81, v28, v29
	;; [unrolled: 1-line block ×4, first 2 shown]
	v_sub_f16_e32 v22, v22, v19
	v_sub_f16_e32 v77, v86, v88
	;; [unrolled: 1-line block ×3, first 2 shown]
	v_add_f16_e32 v90, v31, v30
	v_sub_f16_e32 v91, v94, v96
	v_add_f16_e32 v93, v70, v94
	v_add_f16_e32 v94, v94, v96
	;; [unrolled: 1-line block ×4, first 2 shown]
	v_sub_f16_e32 v101, v98, v100
	v_add_f16_e32 v102, v69, v98
	v_add_f16_e32 v98, v98, v100
	;; [unrolled: 1-line block ×3, first 2 shown]
	v_fma_f16 v33, -0.5, v34, v25
	v_add_f16_e32 v68, v68, v84
	v_fmac_f16_e32 v73, -0.5, v74
	v_add_f16_e32 v34, v75, v20
	v_fmac_f16_e32 v26, -0.5, v76
	;; [unrolled: 2-line block ×3, first 2 shown]
	v_sub_f16_e32 v28, v28, v29
	v_add_f16_e32 v89, v24, v31
	v_sub_f16_e32 v95, v31, v30
	v_add_f16_e32 v31, v27, v29
	v_fma_f16 v29, -0.5, v81, v23
	v_add_f16_e32 v78, v82, v92
	v_fmac_f16_e32 v71, -0.5, v87
	v_sub_f16_e32 v103, v32, v66
	v_fmac_f16_e32 v24, -0.5, v90
	v_fmac_f16_e32 v70, -0.5, v94
	v_add_f16_e32 v27, v97, v66
	v_fmac_f16_e32 v21, -0.5, v99
	v_fmac_f16_e32 v69, -0.5, v98
	v_fmamk_f16 v20, v67, 0x3aee, v33
	v_fmamk_f16 v82, v22, 0xbaee, v73
	v_fmac_f16_e32 v73, 0x3aee, v22
	v_fmamk_f16 v25, v77, 0x3aee, v26
	v_fmamk_f16 v81, v85, 0xbaee, v72
	v_pack_b32_f16 v22, v19, v68
	v_pack_b32_f16 v66, v34, v79
	v_fmac_f16_e32 v33, 0xbaee, v67
	v_fmac_f16_e32 v26, 0xbaee, v77
	;; [unrolled: 1-line block ×3, first 2 shown]
	v_fmamk_f16 v32, v86, 0x3aee, v29
	v_fmamk_f16 v80, v28, 0xbaee, v71
	v_pack_b32_f16 v67, v31, v78
	v_fmac_f16_e32 v29, 0xbaee, v86
	v_fmac_f16_e32 v71, 0x3aee, v28
	v_add_f16_e32 v30, v89, v30
	v_add_f16_e32 v76, v93, v96
	;; [unrolled: 1-line block ×3, first 2 shown]
	v_fmamk_f16 v23, v91, 0x3aee, v24
	v_fmac_f16_e32 v24, 0xbaee, v91
	v_fmamk_f16 v77, v95, 0xbaee, v70
	v_fmac_f16_e32 v70, 0x3aee, v95
	v_fmamk_f16 v28, v101, 0x3aee, v21
	v_fmac_f16_e32 v21, 0xbaee, v101
	v_fmamk_f16 v75, v103, 0xbaee, v69
	v_fmac_f16_e32 v69, 0x3aee, v103
	v_pack_b32_f16 v86, v20, v82
	ds_store_2addr_b32 v47, v22, v66 offset1:17
	v_pack_b32_f16 v22, v25, v81
	v_pack_b32_f16 v87, v33, v73
	v_pack_b32_f16 v66, v26, v72
	ds_store_b32 v47, v67 offset:136
	v_pack_b32_f16 v67, v32, v80
	v_pack_b32_f16 v88, v29, v71
	;; [unrolled: 1-line block ×8, first 2 shown]
	ds_store_2addr_b32 v47, v86, v22 offset0:85 offset1:102
	ds_store_2addr_b32 v47, v87, v66 offset0:170 offset1:187
	ds_store_b32 v83, v67 offset:476
	ds_store_b32 v83, v88 offset:816
	;; [unrolled: 1-line block ×8, first 2 shown]
	global_wb scope:SCOPE_SE
	s_wait_dscnt 0x0
	s_barrier_signal -1
	s_barrier_wait -1
	global_inv scope:SCOPE_SE
	s_and_saveexec_b32 s2, vcc_lo
	s_cbranch_execz .LBB0_9
; %bb.8:
	s_add_nc_u64 s[0:1], s[12:13], 0x3fc
	s_clause 0x10
	global_load_b32 v22, v36, s[12:13] offset:1020
	global_load_b32 v98, v36, s[0:1] offset:60
	;; [unrolled: 1-line block ×17, first 2 shown]
	ds_load_2addr_b32 v[66:67], v47 offset1:15
	ds_load_2addr_b32 v[84:85], v47 offset0:30 offset1:45
	ds_load_2addr_b32 v[86:87], v47 offset0:60 offset1:75
	ds_load_2addr_b32 v[88:89], v47 offset0:90 offset1:105
	ds_load_2addr_b32 v[90:91], v47 offset0:120 offset1:135
	ds_load_2addr_b32 v[92:93], v47 offset0:150 offset1:165
	ds_load_2addr_b32 v[94:95], v47 offset0:180 offset1:195
	ds_load_2addr_b32 v[96:97], v47 offset0:210 offset1:225
	ds_load_b32 v114, v47 offset:960
	s_wait_dscnt 0x8
	v_lshrrev_b32_e32 v115, 16, v66
	v_lshrrev_b32_e32 v116, 16, v67
	s_wait_dscnt 0x7
	v_lshrrev_b32_e32 v117, 16, v84
	v_lshrrev_b32_e32 v118, 16, v85
	s_wait_dscnt 0x6
	v_lshrrev_b32_e32 v119, 16, v86
	v_lshrrev_b32_e32 v120, 16, v87
	s_wait_dscnt 0x5
	v_lshrrev_b32_e32 v121, 16, v88
	v_lshrrev_b32_e32 v122, 16, v89
	s_wait_dscnt 0x4
	v_lshrrev_b32_e32 v123, 16, v90
	v_lshrrev_b32_e32 v124, 16, v91
	s_wait_dscnt 0x3
	v_lshrrev_b32_e32 v125, 16, v92
	v_lshrrev_b32_e32 v126, 16, v93
	s_wait_dscnt 0x2
	v_lshrrev_b32_e32 v127, 16, v94
	v_lshrrev_b32_e32 v128, 16, v95
	s_wait_dscnt 0x1
	v_lshrrev_b32_e32 v129, 16, v96
	v_lshrrev_b32_e32 v130, 16, v97
	s_wait_dscnt 0x0
	v_lshrrev_b32_e32 v131, 16, v114
	s_wait_loadcnt 0x10
	v_lshrrev_b32_e32 v132, 16, v22
	s_wait_loadcnt 0xf
	;; [unrolled: 2-line block ×17, first 2 shown]
	v_lshrrev_b32_e32 v148, 16, v113
	v_mul_f16_e64 v149, v115, v132
	v_mul_f16_e64 v132, v66, v132
	;; [unrolled: 1-line block ×34, first 2 shown]
	v_fma_f16 v66, v66, v22, -v149
	v_fmac_f16_e64 v132, v115, v22
	v_fma_f16 v22, v67, v98, -v150
	v_fmac_f16_e64 v133, v116, v98
	;; [unrolled: 2-line block ×17, first 2 shown]
	v_pack_b32_f16 v66, v66, v132
	v_pack_b32_f16 v22, v22, v133
	;; [unrolled: 1-line block ×17, first 2 shown]
	ds_store_2addr_b32 v47, v66, v22 offset1:15
	ds_store_2addr_b32 v47, v67, v84 offset0:30 offset1:45
	ds_store_2addr_b32 v47, v85, v86 offset0:60 offset1:75
	ds_store_2addr_b32 v47, v87, v88 offset0:90 offset1:105
	ds_store_2addr_b32 v47, v89, v90 offset0:120 offset1:135
	ds_store_2addr_b32 v47, v91, v92 offset0:150 offset1:165
	ds_store_2addr_b32 v47, v93, v94 offset0:180 offset1:195
	ds_store_2addr_b32 v47, v95, v96 offset0:210 offset1:225
	ds_store_b32 v47, v97 offset:960
.LBB0_9:
	s_wait_alu 0xfffe
	s_or_b32 exec_lo, exec_lo, s2
	global_wb scope:SCOPE_SE
	s_wait_dscnt 0x0
	s_barrier_signal -1
	s_barrier_wait -1
	global_inv scope:SCOPE_SE
	s_and_saveexec_b32 s0, vcc_lo
	s_cbranch_execz .LBB0_11
; %bb.10:
	ds_load_2addr_b32 v[19:20], v47 offset1:15
	ds_load_2addr_b32 v[33:34], v47 offset0:30 offset1:45
	ds_load_2addr_b32 v[25:26], v47 offset0:60 offset1:75
	;; [unrolled: 1-line block ×7, first 2 shown]
	ds_load_b32 v41, v47 offset:960
	s_wait_dscnt 0x8
	v_lshrrev_b32_e32 v68, 16, v19
	v_lshrrev_b32_e32 v82, 16, v20
	s_wait_dscnt 0x7
	v_lshrrev_b32_e32 v73, 16, v33
	v_lshrrev_b32_e32 v79, 16, v34
	;; [unrolled: 3-line block ×8, first 2 shown]
	s_wait_dscnt 0x0
	v_lshrrev_b32_e32 v42, 16, v41
	v_mov_b32_e32 v44, v22
.LBB0_11:
	s_wait_alu 0xfffe
	s_or_b32 exec_lo, exec_lo, s0
	v_add_nc_u32_e32 v67, 0x88, v83
	v_add_nc_u32_e32 v66, 0xcc, v83
	;; [unrolled: 1-line block ×3, first 2 shown]
	global_wb scope:SCOPE_SE
	s_barrier_signal -1
	s_barrier_wait -1
	global_inv scope:SCOPE_SE
	s_and_saveexec_b32 s0, vcc_lo
	s_cbranch_execz .LBB0_13
; %bb.12:
	v_add_f16_e64 v194, v42, v82
	v_sub_f16_e32 v88, v20, v41
	v_add_f16_e64 v189, v43, v73
	v_sub_f16_e32 v87, v33, v44
	v_add_f16_e64 v180, v69, v79
	v_mul_f16_e64 v113, 0xbbdd, v194
	v_sub_f16_e32 v84, v34, v21
	v_mul_f16_e64 v114, 0x3b76, v189
	v_add_f16_e64 v178, v75, v81
	v_mul_f16_e64 v115, 0xbacd, v180
	v_fmamk_f16 v86, v88, 0x31e1, v113
	v_sub_f16_e32 v83, v25, v28
	v_fmamk_f16 v89, v87, 0xb5c8, v114
	v_add_f16_e64 v154, v74, v72
	v_mul_f16_e64 v117, 0x39e9, v178
	v_add_f16_e32 v90, v68, v86
	v_fmamk_f16 v91, v84, 0x3836, v115
	v_sub_f16_e64 v179, v82, v42
	v_sub_f16_e32 v85, v26, v27
	v_add_f16_e64 v143, v70, v78
	v_add_f16_e32 v89, v89, v90
	v_mul_f16_e64 v121, 0xb8d2, v154
	v_fmamk_f16 v92, v83, 0xb964, v117
	v_add_f16_e32 v90, v41, v20
	v_mul_f16_e64 v116, 0xb1e1, v179
	v_add_f16_e32 v89, v91, v89
	v_sub_f16_e64 v195, v73, v43
	v_sub_f16_e32 v86, v31, v24
	v_mul_f16_e64 v120, 0x3722, v143
	v_fmamk_f16 v93, v85, 0x3a62, v121
	v_add_f16_e32 v89, v92, v89
	v_add_f16_e32 v91, v44, v33
	v_fmamk_f16 v92, v90, 0xbbdd, v116
	v_mul_f16_e64 v111, 0x35c8, v195
	v_sub_f16_e64 v197, v79, v69
	v_add_f16_e64 v144, v77, v80
	v_fmamk_f16 v94, v86, 0xbb29, v120
	v_add_f16_e32 v93, v93, v89
	v_add_f16_e32 v95, v19, v92
	v_fmamk_f16 v96, v91, 0x3b76, v111
	v_add_f16_e32 v92, v21, v34
	v_mul_f16_e64 v108, 0xb836, v197
	v_sub_f16_e64 v199, v81, v75
	v_mul_f16_e64 v112, 0xb461, v144
	v_sub_f16_e32 v89, v32, v23
	v_add_f16_e32 v94, v94, v93
	v_add_f16_e32 v95, v96, v95
	v_fmamk_f16 v96, v92, 0xbacd, v108
	v_add_f16_e32 v93, v28, v25
	v_mul_f16_e64 v110, 0x3964, v199
	v_fmamk_f16 v97, v89, 0x3bb2, v112
	v_sub_f16_e64 v201, v72, v74
	v_add_f16_e32 v95, v96, v95
	v_mul_f16_e64 v140, 0xbacd, v194
	v_fmamk_f16 v96, v93, 0x39e9, v110
	v_add_f16_e32 v97, v97, v94
	v_add_f16_e32 v94, v27, v26
	v_mul_f16_e64 v118, 0xba62, v201
	v_sub_f16_e64 v203, v78, v70
	v_add_f16_e32 v98, v96, v95
	v_fma_f16 v96, 0x3836, v88, v140
	v_mul_f16_e64 v130, 0x3722, v189
	v_fmamk_f16 v99, v94, 0xb8d2, v118
	v_add_f16_e32 v95, v24, v31
	v_mul_f16_e64 v119, 0x3b29, v203
	v_add_f16_e32 v100, v68, v96
	v_fma_f16 v101, 0xbb29, v87, v130
	v_mul_f16_e64 v131, 0x2de8, v180
	v_add_f16_e32 v98, v99, v98
	v_fmamk_f16 v99, v95, 0x3722, v119
	v_mul_f16_e64 v133, 0xb8d2, v178
	v_add_f16_e32 v100, v101, v100
	v_fma_f16 v101, 0x3bf7, v84, v131
	v_add_f16_e64 v200, v76, v71
	v_add_f16_e32 v98, v99, v98
	v_mul_f16_e64 v134, 0x3b76, v154
	v_sub_f16_e32 v96, v29, v30
	v_add_f16_e32 v99, v101, v100
	v_fma_f16 v101, 0xba62, v83, v133
	v_mul_f16_e64 v128, 0x2de8, v200
	v_fma_f16 v103, 0x35c8, v85, v134
	v_mul_f16_e64 v135, 0xbbdd, v143
	v_mul_f16_e64 v137, 0x39e9, v144
	v_add_f16_e32 v101, v101, v99
	v_fma_f16 v102, 0xbbf7, v96, v128
	v_mul_f16_e64 v145, 0xb836, v179
	v_mul_f16_e64 v147, 0x3b29, v195
	;; [unrolled: 1-line block ×3, first 2 shown]
	v_add_f16_e32 v101, v103, v101
	v_fma_f16 v103, 0x31e1, v86, v135
	v_add_f16_e32 v97, v102, v97
	v_fma_f16 v102, 0xbacd, v90, v145
	v_mul_f16_e64 v181, 0xbbf7, v197
	v_fma_f16 v105, 0x3a62, v88, v138
	v_add_f16_e32 v101, v103, v101
	v_fma_f16 v103, 0xb964, v89, v137
	v_add_f16_e32 v102, v19, v102
	v_mul_f16_e64 v122, 0xb461, v189
	v_mul_f16_e64 v188, 0x3a62, v199
	v_add_f16_e32 v105, v68, v105
	v_add_f16_e32 v101, v103, v101
	v_fma_f16 v103, 0x3722, v91, v147
	v_fmamk_f16 v106, v87, 0xbbb2, v122
	v_mul_f16_e64 v123, 0x3b76, v180
	v_mul_f16_e64 v190, 0xb5c8, v201
	v_sub_f16_e64 v204, v80, v77
	v_add_f16_e32 v102, v103, v102
	v_fma_f16 v103, 0x2de8, v92, v181
	v_add_f16_e32 v105, v106, v105
	v_fmamk_f16 v106, v84, 0x35c8, v123
	v_mul_f16_e64 v124, 0xbacd, v178
	v_mul_f16_e64 v191, 0xb1e1, v203
	v_add_f16_e32 v102, v103, v102
	v_fma_f16 v103, 0xb8d2, v93, v188
	v_add_f16_e32 v100, v23, v32
	v_mul_f16_e64 v129, 0xbbb2, v204
	v_sub_f16_e64 v205, v71, v76
	v_add_f16_e32 v105, v106, v105
	v_add_f16_e32 v102, v103, v102
	v_fma_f16 v103, 0x3b76, v94, v190
	v_fmamk_f16 v106, v83, 0x3836, v124
	v_mul_f16_e64 v125, 0x2de8, v154
	v_mul_f16_e64 v196, 0x3964, v204
	v_fma_f16 v104, 0xb461, v100, v129
	v_add_f16_e32 v102, v103, v102
	v_fma_f16 v103, 0xbbdd, v95, v191
	v_add_f16_e32 v99, v30, v29
	v_mul_f16_e64 v132, 0x3bf7, v205
	v_add_f16_e32 v105, v106, v105
	v_fmamk_f16 v106, v85, 0xbbf7, v125
	v_mul_f16_e64 v126, 0x39e9, v143
	v_add_f16_e32 v102, v103, v102
	v_fma_f16 v103, 0x39e9, v100, v196
	v_mul_f16_e64 v146, 0xbbb2, v205
	v_add_f16_e32 v98, v104, v98
	v_fma_f16 v104, 0x2de8, v99, v132
	v_mul_f16_e64 v139, 0xb461, v200
	v_add_f16_e32 v105, v106, v105
	v_fmamk_f16 v106, v86, 0x3964, v126
	v_mul_f16_e64 v127, 0xbbdd, v144
	v_add_f16_e32 v102, v103, v102
	v_fma_f16 v103, 0xb461, v99, v146
	v_mul_f16_e64 v164, 0xba62, v179
	v_add_f16_e32 v98, v104, v98
	v_fma_f16 v104, 0x3bb2, v96, v139
	v_add_f16_e32 v105, v106, v105
	v_fmamk_f16 v106, v89, 0x31e1, v127
	v_add_f16_e32 v102, v103, v102
	v_fma_f16 v103, 0xb8d2, v90, v164
	v_mul_f16_e64 v167, 0x3bb2, v195
	v_add_f16_e32 v101, v104, v101
	v_add_f16_e32 v104, v106, v105
	v_mul_f16_e64 v170, 0xb461, v194
	v_add_f16_e32 v103, v19, v103
	v_fma_f16 v105, 0xb461, v91, v167
	v_mul_f16_e64 v182, 0xb5c8, v197
	v_mul_f16_e64 v171, 0xbacd, v189
	v_fma_f16 v107, 0x3bb2, v88, v170
	v_mul_f16_e64 v183, 0xb836, v199
	v_add_f16_e32 v103, v105, v103
	v_fma_f16 v105, 0x3b76, v92, v182
	v_fma_f16 v109, 0xb836, v87, v171
	v_add_f16_e32 v107, v68, v107
	v_mul_f16_e64 v172, 0x39e9, v180
	v_mul_f16_e64 v184, 0x3bf7, v201
	v_add_f16_e32 v103, v105, v103
	v_fma_f16 v105, 0xbacd, v93, v183
	v_add_f16_e32 v107, v109, v107
	v_fma_f16 v109, 0xb964, v84, v172
	v_mul_f16_e64 v173, 0x3722, v178
	v_mul_f16_e64 v185, 0xb964, v203
	v_add_f16_e32 v103, v105, v103
	v_fma_f16 v105, 0x2de8, v94, v184
	v_add_f16_e32 v107, v109, v107
	v_fma_f16 v109, 0x3b29, v83, v173
	v_mul_f16_e64 v174, 0xbbdd, v154
	v_mul_f16_e64 v186, 0xb1e1, v204
	v_add_f16_e32 v103, v105, v103
	v_fma_f16 v105, 0x39e9, v95, v185
	v_mul_f16_e64 v136, 0x3722, v200
	v_add_f16_e32 v107, v109, v107
	v_fma_f16 v109, 0x31e1, v85, v174
	;; [unrolled: 3-line block ×3, first 2 shown]
	v_mul_f16_e64 v187, 0x3b29, v205
	v_fma_f16 v106, 0xbb29, v96, v136
	v_add_f16_e32 v107, v109, v107
	v_fma_f16 v109, 0xbbf7, v86, v175
	v_mul_f16_e64 v142, 0x3b76, v144
	v_add_f16_e32 v105, v105, v103
	v_fma_f16 v141, 0x3722, v99, v187
	v_mul_f16_e64 v192, 0xbbb2, v179
	v_add_f16_e32 v107, v109, v107
	v_fma_f16 v109, 0x35c8, v89, v142
	v_add_f16_e32 v103, v106, v104
	v_add_f16_e64 v104, v141, v105
	v_fma_f16 v105, 0xb461, v90, v192
	v_mul_f16_e64 v156, 0x3836, v195
	v_add_f16_e32 v106, v109, v107
	v_mul_f16_e64 v198, 0x2de8, v194
	v_mul_f16_e64 v157, 0x3964, v197
	v_add_f16_e32 v105, v19, v105
	v_fma_f16 v107, 0xbacd, v91, v156
	v_mul_f16_e64 v161, 0xbbdd, v189
	v_fma_f16 v141, 0x3bf7, v88, v198
	v_mul_f16_e64 v158, 0xbb29, v199
	v_mul_f16_e64 v163, 0xb461, v180
	v_add_f16_e32 v105, v107, v105
	v_fma_f16 v107, 0x39e9, v92, v157
	v_add_f16_e64 v141, v68, v141
	v_fma_f16 v148, 0x31e1, v87, v161
	v_mul_f16_e64 v159, 0xb1e1, v201
	v_mul_f16_e64 v166, 0x3b76, v178
	v_add_f16_e32 v105, v107, v105
	v_fma_f16 v107, 0x3722, v93, v158
	v_add_f16_e64 v141, v148, v141
	;; [unrolled: 6-line block ×4, first 2 shown]
	v_fma_f16 v148, 0x3b29, v85, v168
	v_mul_f16_e64 v169, 0xbacd, v143
	v_mul_f16_e64 v165, 0xba62, v205
	v_add_f16_e32 v105, v107, v105
	v_fma_f16 v107, 0x3b76, v100, v162
	v_fma_f16 v109, 0x3a62, v96, v155
	v_add_f16_e64 v141, v148, v141
	v_fma_f16 v148, 0x3836, v86, v169
	v_mul_f16_e64 v176, 0xb8d2, v144
	v_add_f16_e32 v107, v107, v105
	v_fma_f16 v149, 0xb8d2, v99, v165
	v_mul_f16_e64 v207, 0xbbf7, v179
	v_add_f16_e64 v141, v148, v141
	v_fma_f16 v148, 0xba62, v89, v176
	v_add_f16_e32 v105, v109, v106
	v_add_f16_e64 v106, v149, v107
	v_fma_f16 v107, 0x2de8, v90, v207
	v_mul_f16_e64 v209, 0xb1e1, v195
	v_add_f16_e64 v109, v148, v141
	v_mul_f16_e64 v177, 0x3722, v194
	v_mul_f16_e64 v223, 0x3bb2, v197
	v_add_f16_e32 v107, v19, v107
	v_fma_f16 v141, 0xbbdd, v91, v209
	v_mul_f16_e64 v148, 0xb8d2, v189
	v_fma_f16 v149, 0x3b29, v88, v177
	v_mul_f16_e64 v224, 0x35c8, v199
	v_mul_f16_e64 v225, 0xbb29, v201
	v_add_f16_e64 v107, v141, v107
	v_fma_f16 v141, 0xb461, v92, v223
	v_add_f16_e64 v150, v68, v149
	v_fma_f16 v151, 0x3a62, v87, v148
	v_mul_f16_e64 v149, 0xbbdd, v180
	v_mul_f16_e64 v226, 0xb836, v203
	v_add_f16_e64 v107, v141, v107
	v_fma_f16 v141, 0x3b76, v93, v224
	v_add_f16_e64 v151, v151, v150
	;; [unrolled: 6-line block ×4, first 2 shown]
	v_fma_f16 v206, 0xb964, v85, v151
	v_mul_f16_e64 v152, 0x3b76, v143
	v_mul_f16_e64 v208, 0x3964, v205
	v_add_f16_e64 v107, v141, v107
	v_fma_f16 v141, 0xb8d2, v100, v227
	v_fma_f16 v202, 0xb964, v96, v193
	v_add_f16_e64 v206, v206, v153
	v_fma_f16 v211, 0x35c8, v86, v152
	v_mul_f16_e64 v153, 0x2de8, v144
	v_add_f16_e64 v141, v141, v107
	v_mul_f16_e64 v210, 0xbb29, v179
	v_fma_f16 v212, 0x39e9, v99, v208
	v_add_f16_e64 v206, v211, v206
	v_fma_f16 v213, 0x3bf7, v89, v153
	v_add_f16_e64 v107, v202, v109
	v_fma_f16 v202, 0x3722, v90, v210
	v_mul_f16_e64 v211, 0xba62, v195
	v_add_f16_e64 v109, v212, v141
	v_mul_f16_e64 v212, 0x39e9, v194
	v_add_f16_e64 v141, v213, v206
	v_add_f16_e64 v206, v19, v202
	v_fma_f16 v214, 0xb8d2, v91, v211
	v_mul_f16_e64 v218, 0x31e1, v197
	v_fma_f16 v215, 0x3964, v88, v212
	v_mul_f16_e64 v213, 0x2de8, v189
	v_mul_f16_e64 v219, 0x3bb2, v199
	v_add_f16_e64 v206, v214, v206
	v_fma_f16 v216, 0xbbdd, v92, v218
	v_add_f16_e64 v215, v68, v215
	v_fma_f16 v217, 0x3bf7, v87, v213
	v_mul_f16_e64 v214, 0xb8d2, v180
	v_mul_f16_e64 v220, 0x3964, v201
	v_add_f16_e64 v206, v216, v206
	v_fma_f16 v216, 0xb461, v93, v219
	v_add_f16_e64 v217, v217, v215
	v_fma_f16 v222, 0x3a62, v84, v214
	v_mul_f16_e64 v215, 0xbbdd, v178
	v_mul_f16_e64 v202, 0xbacd, v200
	v_add_f16_e64 v206, v216, v206
	v_fma_f16 v228, 0x39e9, v94, v220
	v_mul_f16_e64 v221, 0xb5c8, v203
	v_add_f16_e64 v217, v222, v217
	v_fma_f16 v229, 0x31e1, v83, v215
	;; [unrolled: 3-line block ×4, first 2 shown]
	v_mul_f16_e64 v217, 0xb461, v143
	v_fma_f16 v231, 0x3836, v96, v202
	v_add_f16_e64 v228, v228, v206
	v_fma_f16 v232, 0x2de8, v100, v222
	v_add_f16_e64 v229, v230, v229
	;; [unrolled: 2-line block ×3, first 2 shown]
	v_mul_f16_e64 v231, 0xb964, v179
	v_mul_f16_e64 v206, 0x3722, v144
	v_add_f16_e32 v20, v20, v19
	v_add_f16_e64 v233, v232, v228
	v_add_f16_e64 v229, v230, v229
	v_fma_f16 v228, 0x39e9, v90, v231
	v_mul_f16_e64 v230, 0xbbf7, v195
	v_fma_f16 v234, 0xbb29, v89, v206
	v_mul_f16_e64 v232, 0xb836, v205
	v_add_f16_e32 v33, v33, v20
	v_add_f16_e64 v235, v19, v228
	v_fma_f16 v236, 0x2de8, v91, v230
	v_mul_f16_e64 v228, 0xba62, v197
	v_mul_f16_e64 v20, 0x3b76, v200
	v_add_f16_e64 v234, v234, v229
	v_fma_f16 v229, 0xbacd, v99, v232
	v_add_f16_e64 v237, v34, v33
	v_add_f16_e64 v235, v236, v235
	v_fma_f16 v236, 0xb8d2, v92, v228
	v_mul_f16_e64 v34, 0xb1e1, v199
	v_fma_f16 v238, 0xb5c8, v96, v20
	v_add_f16_e64 v33, v229, v233
	v_add_f16_e64 v233, v25, v237
	;; [unrolled: 1-line block ×3, first 2 shown]
	v_fma_f16 v236, 0xbbdd, v93, v34
	v_mul_f16_e64 v229, 0x3836, v201
	v_mul_f16_e64 v194, 0x3b76, v194
	v_add_f16_e64 v25, v238, v234
	v_add_f16_e64 v233, v26, v233
	;; [unrolled: 1-line block ×3, first 2 shown]
	v_fma_f16 v235, 0xbacd, v94, v229
	v_mul_f16_e64 v26, 0x3bb2, v203
	v_fma_f16 v236, 0x35c8, v88, v194
	v_mul_f16_e64 v189, 0x39e9, v189
	v_add_f16_e64 v31, v31, v233
	v_add_f16_e64 v233, v235, v234
	v_fma_f16 v234, 0xb461, v95, v26
	v_add_f16_e64 v235, v68, v236
	v_fma_f16 v236, 0x3964, v87, v189
	v_add_f16_e64 v237, v32, v31
	v_mul_f16_e64 v180, 0x3722, v180
	v_add_f16_e64 v32, v234, v233
	v_mul_f16_e64 v178, 0x2de8, v178
	v_add_f16_e64 v233, v236, v235
	v_add_f16_e64 v236, v82, v68
	v_fma_f16 v234, 0x3b29, v84, v180
	v_mul_f16_e64 v154, 0xb461, v154
	v_mul_f16_e64 v179, 0xb5c8, v179
	;; [unrolled: 1-line block ×3, first 2 shown]
	v_add_f16_e64 v73, v73, v236
	v_add_f16_e64 v233, v234, v233
	v_fma_f16 v234, 0x3bf7, v83, v178
	v_mul_f16_e64 v197, 0xbb29, v197
	v_add_f16_e64 v29, v29, v237
	v_add_f16_e32 v79, v79, v73
	v_mul_f16_e64 v73, 0xb8d2, v143
	v_add_f16_e64 v233, v234, v233
	v_fma_f16 v234, 0x3bb2, v85, v154
	v_add_f16_e32 v29, v30, v29
	v_add_f16_e32 v81, v81, v79
	v_mul_f16_e64 v79, 0xbacd, v144
	v_fma_f16 v144, 0x39e9, v91, v195
	v_add_f16_e64 v143, v234, v233
	v_fma_f16 v233, 0x3b76, v90, v179
	v_add_f16_e32 v72, v72, v81
	v_fmac_f16_e32 v113, 0xb1e1, v88
	v_add_f16_e32 v23, v23, v29
	v_fmac_f16_e32 v114, 0x35c8, v87
	v_add_f16_e64 v81, v19, v233
	v_add_f16_e32 v72, v78, v72
	v_fmac_f16_e32 v115, 0xb836, v84
	v_add_f16_e32 v23, v24, v23
	v_fmac_f16_e64 v140, 0xb836, v88
	v_add_f16_e64 v78, v144, v81
	v_add_f16_e32 v80, v80, v72
	v_fma_f16 v81, 0x3722, v92, v197
	v_mul_f16_e64 v144, 0xbbf7, v199
	v_mul_f16_e64 v199, 0xbbb2, v201
	v_add_f16_e32 v23, v27, v23
	v_add_f16_e32 v71, v71, v80
	;; [unrolled: 1-line block ×3, first 2 shown]
	v_fma_f16 v81, 0x2de8, v93, v144
	v_fmac_f16_e64 v130, 0x3b29, v87
	v_add_f16_e32 v23, v28, v23
	v_add_f16_e32 v30, v76, v71
	v_fma_f16 v71, 0xb461, v94, v199
	v_add_f16_e32 v78, v81, v78
	v_mul_f16_e64 v76, 0xba62, v203
	v_add_f16_e32 v21, v21, v23
	v_add_f16_e32 v29, v77, v30
	;; [unrolled: 1-line block ×4, first 2 shown]
	v_fmamk_f16 v77, v95, 0xb8d2, v76
	v_add_f16_e32 v21, v44, v21
	v_add_f16_e32 v24, v70, v29
	;; [unrolled: 1-line block ×3, first 2 shown]
	v_mul_f16_e64 v70, 0xb836, v204
	v_add_f16_e32 v30, v77, v71
	v_mul_f16_e64 v71, 0xb1e1, v205
	v_add_f16_e32 v24, v74, v24
	v_add_f16_e32 v27, v115, v29
	v_fmamk_f16 v29, v100, 0xbacd, v70
	v_add_f16_e32 v21, v41, v21
	v_add_f16_e64 v41, v68, v140
	v_add_f16_e32 v24, v75, v24
	v_fmac_f16_e64 v131, 0xbbf7, v84
	v_add_f16_e32 v28, v29, v30
	v_fmamk_f16 v29, v99, 0xbbdd, v71
	v_fma_f16 v30, v91, 0x3b76, -v111
	v_add_f16_e32 v23, v69, v24
	v_add_f16_e64 v41, v130, v41
	v_fmac_f16_e64 v133, 0x3a62, v83
	v_add_f16_e32 v28, v29, v28
	v_fma_f16 v29, v90, 0xbbdd, -v116
	v_add_f16_e32 v23, v43, v23
	v_fma_f16 v43, v91, 0x3722, -v147
	v_add_f16_e64 v41, v131, v41
	v_fmac_f16_e64 v134, 0xb5c8, v85
	v_add_f16_e32 v29, v19, v29
	v_add_f16_e32 v23, v42, v23
	v_fma_f16 v42, v90, 0xbacd, -v145
	v_add_f16_e64 v41, v133, v41
	v_fmac_f16_e64 v135, 0xb1e1, v86
	v_add_f16_e32 v29, v30, v29
	v_fma_f16 v30, v92, 0xbacd, -v108
	v_add_f16_e32 v42, v19, v42
	v_add_f16_e64 v41, v134, v41
	v_fmac_f16_e64 v137, 0x3964, v89
	v_fmac_f16_e64 v139, 0xbbb2, v96
	v_add_f16_e32 v29, v30, v29
	v_fma_f16 v30, v93, 0x39e9, -v110
	v_add_f16_e32 v42, v43, v42
	v_fma_f16 v43, v92, 0x2de8, -v181
	v_add_f16_e64 v41, v135, v41
	v_fmac_f16_e64 v138, 0xba62, v88
	v_add_f16_e32 v29, v30, v29
	v_fma_f16 v30, v94, 0xb8d2, -v118
	v_add_f16_e32 v42, v43, v42
	v_fma_f16 v43, v93, 0xb8d2, -v188
	v_add_f16_e64 v41, v137, v41
	v_add_f16_e64 v44, v68, v138
	v_add_f16_e32 v29, v30, v29
	v_fma_f16 v30, v95, 0x3722, -v119
	v_add_f16_e32 v42, v43, v42
	v_fma_f16 v43, v94, 0x3b76, -v190
	v_fmac_f16_e32 v122, 0x3bb2, v87
	v_fma_f16 v69, v91, 0xb461, -v167
	v_add_f16_e32 v29, v30, v29
	v_fma_f16 v30, v100, 0xb461, -v129
	v_add_f16_e32 v42, v43, v42
	v_fma_f16 v43, v95, 0xbbdd, -v191
	v_fmac_f16_e64 v170, 0xbbb2, v88
	v_fmac_f16_e64 v171, 0x3836, v87
	v_add_f16_e32 v29, v30, v29
	v_fma_f16 v30, v99, 0x2de8, -v132
	v_add_f16_e32 v42, v43, v42
	v_fma_f16 v43, v100, 0x39e9, -v196
	v_fmac_f16_e64 v172, 0x3964, v84
	v_fmac_f16_e64 v173, 0xbb29, v83
	v_add_f16_e32 v29, v30, v29
	v_add_f16_e64 v30, v139, v41
	v_fma_f16 v41, v90, 0xb8d2, -v164
	v_add_f16_e32 v42, v43, v42
	v_fma_f16 v43, v99, 0xb461, -v146
	v_fmac_f16_e64 v174, 0xb1e1, v85
	v_fmac_f16_e64 v175, 0x3bf7, v86
	v_add_f16_e32 v41, v19, v41
	v_fmac_f16_e64 v142, 0xb5c8, v89
	v_add_f16_e32 v42, v43, v42
	v_add_f16_e32 v43, v122, v44
	v_fma_f16 v44, v92, 0x3b76, -v182
	v_add_f16_e32 v41, v69, v41
	v_add_f16_e64 v69, v68, v170
	v_fma_f16 v74, v90, 0xb461, -v192
	v_fmac_f16_e64 v198, 0xbbf7, v88
	v_fmac_f16_e64 v161, 0xb1e1, v87
	v_add_f16_e32 v41, v44, v41
	v_fma_f16 v44, v93, 0xbacd, -v183
	v_add_f16_e64 v69, v171, v69
	v_add_f16_e64 v75, v68, v198
	v_fma_f16 v77, v90, 0x2de8, -v207
	v_fmac_f16_e64 v163, 0x3bb2, v84
	v_add_f16_e32 v41, v44, v41
	v_fma_f16 v44, v94, 0x2de8, -v184
	v_add_f16_e64 v69, v172, v69
	v_add_f16_e64 v75, v161, v75
	v_add_f16_e32 v77, v19, v77
	v_fma_f16 v78, v91, 0xbbdd, -v209
	v_add_f16_e32 v41, v44, v41
	v_fma_f16 v44, v95, 0x39e9, -v185
	v_add_f16_e64 v69, v173, v69
	v_add_f16_e64 v75, v163, v75
	v_fmac_f16_e64 v166, 0x35c8, v83
	v_add_f16_e32 v77, v78, v77
	v_add_f16_e32 v41, v44, v41
	v_fma_f16 v44, v100, 0xbbdd, -v186
	v_add_f16_e64 v69, v174, v69
	v_fma_f16 v78, v92, 0xb461, -v223
	v_add_f16_e64 v75, v166, v75
	v_fmac_f16_e64 v168, 0xbb29, v85
	v_add_f16_e32 v41, v44, v41
	v_fma_f16 v44, v99, 0x3722, -v187
	v_add_f16_e64 v69, v175, v69
	v_add_f16_e32 v77, v78, v77
	v_fma_f16 v78, v93, 0x3b76, -v224
	v_add_f16_e64 v75, v168, v75
	v_add_f16_e32 v41, v44, v41
	v_add_f16_e64 v44, v142, v69
	v_add_f16_e32 v69, v19, v74
	v_fma_f16 v74, v91, 0xbacd, -v156
	v_fmac_f16_e64 v169, 0xb836, v86
	v_fma_f16 v234, 0x3a62, v86, v73
	v_add_f16_e32 v77, v78, v77
	v_fma_f16 v78, v94, 0x3722, -v225
	v_add_f16_e32 v69, v74, v69
	v_fma_f16 v74, v92, 0x39e9, -v157
	v_add_f16_e64 v75, v169, v75
	v_fmac_f16_e64 v176, 0x3a62, v89
	v_add_f16_e64 v143, v234, v143
	v_fma_f16 v233, 0x3836, v89, v79
	v_add_f16_e32 v69, v74, v69
	v_fma_f16 v74, v93, 0x3722, -v158
	v_mul_f16_e64 v72, 0xbbdd, v200
	v_fmac_f16_e32 v117, 0x3964, v83
	v_add_f16_e32 v77, v78, v77
	v_fma_f16 v78, v95, 0xbacd, -v226
	v_add_f16_e32 v69, v74, v69
	v_fma_f16 v74, v94, 0xbbdd, -v159
	v_add_f16_e64 v75, v176, v75
	v_fmac_f16_e64 v193, 0x3964, v96
	v_add_f16_e64 v143, v233, v143
	v_fmamk_f16 v80, v96, 0x31e1, v72
	v_add_f16_e32 v69, v74, v69
	v_fma_f16 v74, v95, 0x2de8, -v160
	v_add_f16_e32 v27, v117, v27
	v_fmac_f16_e32 v121, 0xba62, v85
	v_add_f16_e32 v77, v78, v77
	v_fma_f16 v78, v100, 0xb8d2, -v227
	v_add_f16_e32 v69, v74, v69
	v_fma_f16 v74, v100, 0x3b76, -v162
	v_fmac_f16_e64 v177, 0xbb29, v88
	v_add_f16_e32 v24, v121, v27
	v_add_f16_e64 v27, v80, v143
	v_add_f16_e32 v77, v78, v77
	v_add_f16_e32 v69, v74, v69
	v_fma_f16 v74, v99, 0xb8d2, -v165
	v_fma_f16 v78, v99, 0x39e9, -v208
	v_add_f16_e64 v80, v68, v177
	v_fmac_f16_e64 v148, 0xba62, v87
	v_fma_f16 v81, v91, 0xb8d2, -v211
	v_add_f16_e32 v69, v74, v69
	v_add_f16_e64 v74, v193, v75
	v_fma_f16 v75, v90, 0x3722, -v210
	v_fmac_f16_e64 v212, 0xb964, v88
	v_add_f16_e32 v77, v78, v77
	v_add_f16_e64 v78, v148, v80
	v_fma_f16 v80, v92, 0xbbdd, -v218
	v_add_f16_e32 v75, v19, v75
	v_fmac_f16_e64 v213, 0xbbf7, v87
	v_fmac_f16_e64 v214, 0xba62, v84
	;; [unrolled: 1-line block ×4, first 2 shown]
	v_add_f16_e32 v75, v81, v75
	v_add_f16_e64 v81, v68, v212
	v_fmac_f16_e64 v217, 0x3bb2, v86
	v_fmac_f16_e64 v206, 0x3b29, v89
	v_fma_f16 v108, v90, 0x39e9, -v231
	v_add_f16_e32 v75, v80, v75
	v_fma_f16 v80, v93, 0xb461, -v219
	v_add_f16_e64 v81, v213, v81
	v_fmac_f16_e64 v194, 0xb5c8, v88
	v_fma_f16 v88, v91, 0x2de8, -v230
	v_fmac_f16_e64 v189, 0xb964, v87
	v_add_f16_e32 v75, v80, v75
	v_fma_f16 v80, v94, 0x39e9, -v220
	v_add_f16_e64 v81, v214, v81
	v_add_f16_e64 v68, v68, v194
	v_fma_f16 v87, v90, 0x3b76, -v179
	v_fmac_f16_e32 v123, 0xb5c8, v84
	v_add_f16_e32 v75, v80, v75
	v_fma_f16 v80, v95, 0x3b76, -v221
	v_add_f16_e64 v81, v215, v81
	v_fmac_f16_e64 v149, 0x31e1, v84
	v_add_f16_e64 v68, v189, v68
	v_fmac_f16_e64 v180, 0xbb29, v84
	v_add_f16_e32 v75, v80, v75
	v_fma_f16 v80, v100, 0x2de8, -v222
	v_add_f16_e64 v81, v216, v81
	v_fma_f16 v84, v91, 0x39e9, -v195
	v_fmac_f16_e32 v124, 0xb836, v83
	v_fmac_f16_e64 v150, 0x3bb2, v83
	v_add_f16_e32 v75, v80, v75
	v_fma_f16 v80, v99, 0xbacd, -v232
	v_add_f16_e64 v81, v217, v81
	v_fma_f16 v34, v93, 0xbbdd, -v34
	v_add_f16_e64 v68, v180, v68
	v_fmac_f16_e64 v178, 0xbbf7, v83
	v_add_f16_e32 v75, v80, v75
	v_add_f16_e64 v80, v206, v81
	v_add_f16_e32 v81, v19, v108
	v_add_f16_e32 v19, v19, v87
	v_fma_f16 v83, v92, 0x3722, -v197
	v_add_f16_e32 v43, v123, v43
	v_add_f16_e64 v78, v149, v78
	v_add_f16_e32 v81, v88, v81
	v_fma_f16 v88, v92, 0xb8d2, -v228
	v_add_f16_e32 v19, v84, v19
	v_add_f16_e64 v68, v178, v68
	v_fmac_f16_e64 v154, 0xbbb2, v85
	v_mul_f16_e64 v31, 0x3b29, v204
	v_add_f16_e32 v81, v88, v81
	v_add_f16_e32 v19, v83, v19
	v_fma_f16 v83, v93, 0x2de8, -v144
	v_add_f16_e32 v43, v124, v43
	v_fmac_f16_e32 v125, 0x3bf7, v85
	v_add_f16_e32 v34, v34, v81
	v_fma_f16 v81, v94, 0xbacd, -v229
	v_add_f16_e64 v78, v150, v78
	v_fmac_f16_e64 v151, 0x3964, v85
	v_fma_f16 v26, v95, 0xb461, -v26
	v_add_f16_e64 v68, v154, v68
	v_add_f16_e32 v34, v81, v34
	v_fmac_f16_e32 v73, 0xba62, v86
	v_add_f16_e32 v19, v83, v19
	v_fma_f16 v81, v94, 0xb461, -v199
	v_fmac_f16_e32 v120, 0x3b29, v86
	v_fma_f16 v235, 0x3722, v100, v31
	v_mul_f16_e64 v82, 0x35c8, v205
	v_add_f16_e32 v43, v125, v43
	v_fmac_f16_e32 v126, 0xb964, v86
	v_add_f16_e64 v78, v151, v78
	v_fmac_f16_e64 v152, 0xb5c8, v86
	v_add_f16_e32 v26, v26, v34
	v_fma_f16 v31, v100, 0x3722, -v31
	v_add_f16_e32 v34, v73, v68
	v_fmac_f16_e32 v79, 0xb836, v89
	v_add_f16_e32 v19, v81, v19
	v_fma_f16 v68, v95, 0xb8d2, -v76
	v_add_f16_e32 v24, v120, v24
	v_fmac_f16_e32 v112, 0xbbb2, v89
	v_add_f16_e64 v32, v235, v32
	v_fma_f16 v235, 0x3b76, v99, v82
	v_add_f16_e32 v43, v126, v43
	v_fmac_f16_e32 v127, 0xb1e1, v89
	v_add_f16_e64 v78, v152, v78
	v_fmac_f16_e64 v153, 0xbbf7, v89
	v_add_f16_e32 v26, v31, v26
	v_fma_f16 v31, v99, 0x3b76, -v82
	v_add_f16_e32 v34, v79, v34
	v_fmac_f16_e32 v72, 0xb1e1, v96
	v_add_f16_e32 v19, v68, v19
	v_fma_f16 v68, v100, 0xbacd, -v70
	v_add_f16_e32 v24, v112, v24
	v_fmac_f16_e64 v128, 0x3bf7, v96
	v_and_b32_e32 v40, 0xffff, v40
	v_add_f16_e64 v32, v235, v32
	v_add_f16_e32 v43, v127, v43
	v_fmac_f16_e64 v136, 0x3b29, v96
	v_fmac_f16_e64 v155, 0xba62, v96
	v_add_f16_e64 v78, v153, v78
	v_fmac_f16_e64 v202, 0xb836, v96
	v_fmac_f16_e32 v20, 0x35c8, v96
	v_add_f16_e32 v26, v31, v26
	v_add_f16_e32 v31, v72, v34
	;; [unrolled: 1-line block ×3, first 2 shown]
	v_fma_f16 v34, v99, 0xbbdd, -v71
	v_add_f16_e64 v24, v128, v24
	v_lshl_add_u32 v39, v40, 2, v39
	v_pack_b32_f16 v27, v28, v27
	v_pack_b32_f16 v21, v21, v23
	v_add_f16_e64 v43, v136, v43
	v_pack_b32_f16 v23, v33, v141
	v_pack_b32_f16 v25, v32, v25
	v_add_f16_e64 v44, v155, v44
	;; [unrolled: 3-line block ×3, first 2 shown]
	v_add_f16_e32 v20, v20, v80
	v_pack_b32_f16 v33, v102, v101
	v_pack_b32_f16 v40, v104, v103
	v_add_f16_e32 v19, v34, v19
	ds_store_2addr_b32 v39, v21, v27 offset1:1
	ds_store_2addr_b32 v39, v25, v23 offset0:2 offset1:3
	ds_store_2addr_b32 v39, v32, v28 offset0:4 offset1:5
	;; [unrolled: 1-line block ×3, first 2 shown]
	v_pack_b32_f16 v21, v29, v24
	v_pack_b32_f16 v23, v98, v97
	;; [unrolled: 1-line block ×9, first 2 shown]
	ds_store_2addr_b32 v39, v23, v21 offset0:8 offset1:9
	ds_store_2addr_b32 v39, v25, v24 offset0:10 offset1:11
	;; [unrolled: 1-line block ×4, first 2 shown]
	ds_store_b32 v39, v19 offset:64
.LBB0_13:
	s_wait_alu 0xfffe
	s_or_b32 exec_lo, exec_lo, s0
	global_wb scope:SCOPE_SE
	s_wait_dscnt 0x0
	s_barrier_signal -1
	s_barrier_wait -1
	global_inv scope:SCOPE_SE
	ds_load_2addr_b32 v[19:20], v45 offset1:17
	ds_load_2addr_b32 v[23:24], v45 offset0:34 offset1:51
	ds_load_2addr_b32 v[25:26], v45 offset0:102 offset1:119
	;; [unrolled: 1-line block ×6, first 2 shown]
	ds_load_b32 v21, v45 offset:952
	global_wb scope:SCOPE_SE
	s_wait_dscnt 0x0
	s_barrier_signal -1
	s_barrier_wait -1
	global_inv scope:SCOPE_SE
	v_lshrrev_b32_e32 v39, 16, v19
	v_lshrrev_b32_e32 v40, 16, v24
	;; [unrolled: 1-line block ×4, first 2 shown]
	v_mul_f16_e32 v78, v61, v24
	v_lshrrev_b32_e32 v68, 16, v31
	v_mul_f16_e32 v77, v61, v40
	v_lshrrev_b32_e32 v43, 16, v29
	v_lshrrev_b32_e32 v69, 16, v26
	v_mul_f16_e32 v79, v60, v41
	v_mul_f16_e32 v80, v60, v25
	;; [unrolled: 1-line block ×3, first 2 shown]
	v_fmac_f16_e32 v77, v0, v24
	v_fma_f16 v24, v0, v40, -v78
	v_mul_f16_e32 v78, v61, v68
	v_lshrrev_b32_e32 v70, 16, v33
	v_lshrrev_b32_e32 v71, 16, v30
	v_fmac_f16_e32 v79, v1, v25
	v_fma_f16 v25, v1, v41, -v80
	v_fmac_f16_e32 v81, v2, v28
	v_mul_f16_e32 v28, v59, v28
	v_mul_f16_e32 v40, v58, v43
	;; [unrolled: 1-line block ×4, first 2 shown]
	v_fmac_f16_e32 v78, v0, v31
	v_mul_f16_e32 v31, v60, v69
	v_lshrrev_b32_e32 v73, 16, v32
	v_lshrrev_b32_e32 v74, 16, v27
	v_fma_f16 v28, v2, v42, -v28
	v_fmac_f16_e32 v40, v3, v29
	v_fma_f16 v29, v3, v43, -v41
	v_mul_f16_e32 v41, v60, v26
	v_mul_f16_e32 v42, v59, v70
	;; [unrolled: 1-line block ×4, first 2 shown]
	v_fmac_f16_e32 v31, v1, v26
	v_mul_f16_e32 v26, v58, v30
	v_lshrrev_b32_e32 v75, 16, v34
	v_fma_f16 v1, v1, v69, -v41
	v_fmac_f16_e32 v42, v2, v33
	v_fma_f16 v2, v2, v70, -v43
	v_fmac_f16_e32 v59, v3, v30
	v_mul_f16_e32 v30, v65, v73
	v_mul_f16_e32 v41, v64, v74
	;; [unrolled: 1-line block ×3, first 2 shown]
	v_fma_f16 v3, v3, v71, -v26
	v_add_f16_e32 v26, v79, v81
	v_lshrrev_b32_e32 v76, 16, v21
	v_mul_f16_e32 v33, v65, v32
	v_fmac_f16_e32 v30, v4, v32
	v_fmac_f16_e32 v41, v5, v27
	v_fma_f16 v5, v5, v74, -v43
	v_mul_f16_e32 v27, v63, v75
	v_mul_f16_e32 v32, v63, v34
	v_add_f16_e32 v43, v19, v77
	v_fma_f16 v26, -0.5, v26, v19
	v_sub_f16_e32 v58, v24, v29
	v_fma_f16 v0, v0, v68, -v61
	v_fma_f16 v4, v4, v73, -v33
	v_mul_f16_e32 v33, v62, v76
	v_fmac_f16_e32 v27, v6, v34
	v_fma_f16 v6, v6, v75, -v32
	v_add_f16_e32 v32, v43, v79
	v_fmamk_f16 v34, v58, 0xbb9c, v26
	v_sub_f16_e32 v43, v25, v28
	v_sub_f16_e32 v60, v77, v79
	;; [unrolled: 1-line block ×3, first 2 shown]
	v_add_f16_e32 v63, v77, v40
	v_fmac_f16_e32 v26, 0x3b9c, v58
	v_fmac_f16_e32 v33, v7, v21
	v_mul_f16_e32 v21, v62, v21
	v_add_f16_e32 v32, v32, v81
	v_fmac_f16_e32 v34, 0xb8b4, v43
	v_add_f16_e32 v60, v60, v61
	v_fma_f16 v19, -0.5, v63, v19
	v_sub_f16_e32 v61, v79, v77
	v_sub_f16_e32 v62, v81, v40
	v_fmac_f16_e32 v26, 0x38b4, v43
	v_add_f16_e32 v63, v39, v24
	v_add_f16_e32 v64, v25, v28
	v_fma_f16 v7, v7, v76, -v21
	v_add_f16_e32 v21, v32, v40
	v_fmac_f16_e32 v34, 0x34f2, v60
	v_fmamk_f16 v32, v43, 0x3b9c, v19
	v_add_f16_e32 v61, v61, v62
	v_fmac_f16_e32 v19, 0xbb9c, v43
	v_add_f16_e32 v43, v63, v25
	v_fma_f16 v62, -0.5, v64, v39
	v_sub_f16_e32 v40, v77, v40
	v_fmac_f16_e32 v26, 0x34f2, v60
	v_add_f16_e32 v60, v24, v29
	v_sub_f16_e32 v64, v24, v25
	v_sub_f16_e32 v24, v25, v24
	;; [unrolled: 1-line block ×3, first 2 shown]
	v_fmac_f16_e32 v32, 0xb8b4, v58
	v_fmac_f16_e32 v19, 0x38b4, v58
	v_add_f16_e32 v43, v43, v28
	v_fmamk_f16 v58, v40, 0x3b9c, v62
	v_sub_f16_e32 v63, v79, v81
	v_sub_f16_e32 v65, v29, v28
	v_fmac_f16_e32 v39, -0.5, v60
	v_fmac_f16_e32 v62, 0xbb9c, v40
	v_add_f16_e32 v28, v31, v42
	v_add_f16_e32 v24, v24, v25
	;; [unrolled: 1-line block ×3, first 2 shown]
	v_lshrrev_b32_e32 v44, 16, v20
	v_fmac_f16_e32 v32, 0x34f2, v61
	v_fmac_f16_e32 v19, 0x34f2, v61
	v_add_f16_e32 v43, v43, v29
	v_fmac_f16_e32 v58, 0x38b4, v63
	v_add_f16_e32 v60, v64, v65
	v_fmamk_f16 v61, v63, 0xbb9c, v39
	v_fmac_f16_e32 v62, 0xb8b4, v63
	v_fma_f16 v28, -0.5, v28, v20
	v_sub_f16_e32 v29, v0, v3
	v_fmac_f16_e32 v39, 0x3b9c, v63
	v_add_f16_e32 v25, v25, v31
	v_add_f16_e32 v68, v78, v59
	v_fmac_f16_e32 v58, 0x34f2, v60
	v_fmac_f16_e32 v61, 0x38b4, v40
	;; [unrolled: 1-line block ×3, first 2 shown]
	v_fmamk_f16 v60, v29, 0xbb9c, v28
	v_sub_f16_e32 v63, v1, v2
	v_sub_f16_e32 v64, v78, v31
	;; [unrolled: 1-line block ×3, first 2 shown]
	v_fmac_f16_e32 v39, 0xb8b4, v40
	v_add_f16_e32 v25, v25, v42
	v_fmac_f16_e32 v20, -0.5, v68
	v_fmac_f16_e32 v28, 0x3b9c, v29
	v_add_f16_e32 v68, v44, v0
	v_fmac_f16_e32 v61, 0x34f2, v24
	v_fmac_f16_e32 v60, 0xb8b4, v63
	v_add_f16_e32 v40, v64, v65
	v_fmac_f16_e32 v39, 0x34f2, v24
	v_add_f16_e32 v24, v25, v59
	v_fmamk_f16 v25, v63, 0x3b9c, v20
	v_sub_f16_e32 v64, v31, v78
	v_sub_f16_e32 v65, v42, v59
	v_fmac_f16_e32 v28, 0x38b4, v63
	v_add_f16_e32 v69, v1, v2
	v_fmac_f16_e32 v20, 0xbb9c, v63
	v_add_f16_e32 v63, v68, v1
	;; [unrolled: 2-line block ×3, first 2 shown]
	v_fma_f16 v65, -0.5, v69, v44
	v_sub_f16_e32 v59, v78, v59
	v_fmac_f16_e32 v20, 0x38b4, v29
	v_add_f16_e32 v29, v63, v2
	v_add_f16_e32 v63, v0, v3
	v_fmac_f16_e32 v60, 0x34f2, v40
	v_fmac_f16_e32 v28, 0x34f2, v40
	v_fmamk_f16 v40, v59, 0x3b9c, v65
	v_sub_f16_e32 v31, v31, v42
	v_sub_f16_e32 v42, v0, v1
	;; [unrolled: 1-line block ×3, first 2 shown]
	v_fmac_f16_e32 v44, -0.5, v63
	v_fmac_f16_e32 v65, 0xbb9c, v59
	v_sub_f16_e32 v0, v1, v0
	v_sub_f16_e32 v1, v2, v3
	v_add_f16_e32 v2, v41, v27
	v_add_f16_e32 v29, v29, v3
	v_fmac_f16_e32 v40, 0x38b4, v31
	v_add_f16_e32 v42, v42, v68
	v_fmamk_f16 v63, v31, 0xbb9c, v44
	v_fmac_f16_e32 v65, 0xb8b4, v31
	v_add_f16_e32 v0, v0, v1
	v_fmac_f16_e32 v44, 0x3b9c, v31
	v_add_f16_e32 v1, v23, v30
	v_fma_f16 v2, -0.5, v2, v23
	v_sub_f16_e32 v3, v4, v7
	v_fmac_f16_e32 v25, 0x34f2, v64
	v_fmac_f16_e32 v20, 0x34f2, v64
	;; [unrolled: 1-line block ×6, first 2 shown]
	v_add_f16_e32 v1, v1, v41
	v_fmamk_f16 v31, v3, 0xbb9c, v2
	v_sub_f16_e32 v42, v5, v6
	v_sub_f16_e32 v59, v30, v41
	;; [unrolled: 1-line block ×3, first 2 shown]
	v_fmac_f16_e32 v2, 0x3b9c, v3
	v_add_f16_e32 v68, v30, v33
	v_lshrrev_b32_e32 v72, 16, v23
	v_add_f16_e32 v1, v1, v27
	v_fmac_f16_e32 v31, 0xb8b4, v42
	v_add_f16_e32 v59, v59, v64
	v_fmac_f16_e32 v2, 0x38b4, v42
	v_fmac_f16_e32 v23, -0.5, v68
	v_sub_f16_e32 v64, v41, v30
	v_sub_f16_e32 v68, v27, v33
	v_fmac_f16_e32 v63, 0x34f2, v0
	v_fmac_f16_e32 v44, 0x34f2, v0
	v_add_f16_e32 v0, v1, v33
	v_fmac_f16_e32 v31, 0x34f2, v59
	v_fmac_f16_e32 v2, 0x34f2, v59
	v_fmamk_f16 v1, v42, 0x3b9c, v23
	v_add_f16_e32 v59, v5, v6
	v_fmac_f16_e32 v23, 0xbb9c, v42
	v_sub_f16_e32 v30, v30, v33
	v_add_f16_e32 v33, v64, v68
	v_add_f16_e32 v64, v4, v7
	;; [unrolled: 1-line block ×3, first 2 shown]
	v_fma_f16 v59, -0.5, v59, v72
	v_fmac_f16_e32 v1, 0xb8b4, v3
	v_fmac_f16_e32 v23, 0x38b4, v3
	v_sub_f16_e32 v27, v41, v27
	v_fmac_f16_e32 v72, -0.5, v64
	v_add_f16_e32 v3, v42, v5
	v_fmac_f16_e32 v1, 0x34f2, v33
	v_fmac_f16_e32 v23, 0x34f2, v33
	v_sub_f16_e32 v33, v4, v5
	v_fmamk_f16 v64, v27, 0xbb9c, v72
	v_sub_f16_e32 v4, v5, v4
	v_sub_f16_e32 v5, v6, v7
	v_fmac_f16_e32 v72, 0x3b9c, v27
	v_fmamk_f16 v42, v30, 0x3b9c, v59
	v_sub_f16_e32 v41, v7, v6
	v_fmac_f16_e32 v59, 0xbb9c, v30
	v_fmac_f16_e32 v64, 0x38b4, v30
	v_add_f16_e32 v4, v4, v5
	v_fmac_f16_e32 v72, 0xb8b4, v30
	v_add_f16_e32 v3, v3, v6
	;; [unrolled: 2-line block ×3, first 2 shown]
	v_fmac_f16_e32 v59, 0xb8b4, v27
	v_fmac_f16_e32 v64, 0x34f2, v4
	;; [unrolled: 1-line block ×3, first 2 shown]
	v_pack_b32_f16 v4, v21, v43
	v_pack_b32_f16 v5, v34, v58
	v_add_f16_e32 v3, v3, v7
	v_fmac_f16_e32 v42, 0x34f2, v6
	v_fmac_f16_e32 v59, 0x34f2, v6
	v_pack_b32_f16 v6, v32, v61
	v_pack_b32_f16 v7, v19, v39
	;; [unrolled: 1-line block ×4, first 2 shown]
	ds_store_2addr_b32 v45, v4, v5 offset1:17
	ds_store_2addr_b32 v45, v6, v7 offset0:34 offset1:51
	ds_store_2addr_b32 v45, v19, v21 offset0:68 offset1:85
	v_pack_b32_f16 v4, v60, v40
	v_pack_b32_f16 v5, v25, v63
	v_pack_b32_f16 v6, v20, v44
	v_pack_b32_f16 v7, v28, v65
	v_pack_b32_f16 v0, v0, v3
	v_pack_b32_f16 v3, v31, v42
	v_pack_b32_f16 v1, v1, v64
	v_pack_b32_f16 v19, v23, v72
	v_pack_b32_f16 v2, v2, v59
	ds_store_2addr_b32 v45, v4, v5 offset0:102 offset1:119
	ds_store_2addr_b32 v45, v6, v7 offset0:136 offset1:153
	;; [unrolled: 1-line block ×4, first 2 shown]
	ds_store_b32 v46, v2 offset:952
	global_wb scope:SCOPE_SE
	s_wait_dscnt 0x0
	s_barrier_signal -1
	s_barrier_wait -1
	global_inv scope:SCOPE_SE
	ds_load_2addr_b32 v[0:1], v45 offset1:17
	ds_load_2addr_b32 v[2:3], v45 offset0:68 offset1:85
	ds_load_2addr_b32 v[4:5], v45 offset0:170 offset1:187
	;; [unrolled: 1-line block ×6, first 2 shown]
	ds_load_b32 v21, v45 offset:952
	s_wait_dscnt 0x7
	v_lshrrev_b32_e32 v27, 16, v0
	s_wait_dscnt 0x6
	v_lshrrev_b32_e32 v28, 16, v3
	;; [unrolled: 2-line block ×4, first 2 shown]
	v_mul_f16_e32 v46, v57, v3
	v_lshrrev_b32_e32 v32, 16, v5
	v_mul_f16_e32 v44, v57, v28
	v_mul_f16_e32 v58, v56, v29
	v_lshrrev_b32_e32 v34, 16, v7
	s_wait_dscnt 0x2
	v_lshrrev_b32_e32 v39, 16, v23
	s_wait_dscnt 0x1
	v_lshrrev_b32_e32 v41, 16, v25
	v_fmac_f16_e32 v44, v13, v3
	v_mul_f16_e32 v3, v56, v4
	v_fma_f16 v13, v13, v28, -v46
	v_mul_f16_e32 v28, v55, v31
	v_fmac_f16_e32 v58, v14, v4
	v_mul_f16_e32 v4, v55, v6
	v_fma_f16 v3, v14, v29, -v3
	v_mul_f16_e32 v14, v54, v32
	v_fmac_f16_e32 v28, v15, v6
	v_mul_f16_e32 v6, v54, v5
	v_fma_f16 v4, v15, v31, -v4
	v_mul_f16_e32 v15, v53, v34
	v_fmac_f16_e32 v14, v16, v5
	v_mul_f16_e32 v5, v53, v7
	v_fma_f16 v6, v16, v32, -v6
	v_mul_f16_e32 v16, v52, v39
	v_lshrrev_b32_e32 v42, 16, v24
	v_fmac_f16_e32 v15, v17, v7
	v_mul_f16_e32 v7, v52, v23
	v_lshrrev_b32_e32 v45, 16, v26
	v_fma_f16 v5, v17, v34, -v5
	v_mul_f16_e32 v17, v51, v41
	v_fmac_f16_e32 v16, v18, v23
	v_mul_f16_e32 v23, v51, v25
	v_fma_f16 v7, v18, v39, -v7
	v_mul_f16_e32 v18, v50, v42
	s_wait_dscnt 0x0
	v_lshrrev_b32_e32 v57, 16, v21
	v_fmac_f16_e32 v17, v11, v25
	v_mul_f16_e32 v25, v50, v24
	v_fma_f16 v11, v11, v41, -v23
	v_mul_f16_e32 v23, v49, v45
	v_fmac_f16_e32 v18, v12, v24
	v_mul_f16_e32 v24, v49, v26
	v_fma_f16 v12, v12, v42, -v25
	v_mul_f16_e32 v25, v48, v57
	v_fmac_f16_e32 v23, v9, v26
	v_mul_f16_e32 v26, v48, v21
	v_fma_f16 v9, v9, v45, -v24
	v_add_f16_e32 v24, v44, v58
	v_fmac_f16_e32 v25, v10, v21
	v_add_f16_e32 v21, v0, v44
	v_fma_f16 v10, v10, v57, -v26
	v_add_f16_e32 v26, v13, v3
	v_fma_f16 v0, -0.5, v24, v0
	v_sub_f16_e32 v24, v13, v3
	v_add_f16_e32 v13, v27, v13
	v_lshrrev_b32_e32 v30, 16, v1
	v_fmac_f16_e32 v27, -0.5, v26
	v_sub_f16_e32 v26, v44, v58
	v_fmamk_f16 v29, v24, 0xbaee, v0
	v_add_f16_e32 v3, v13, v3
	v_add_f16_e32 v13, v28, v14
	v_fmac_f16_e32 v0, 0x3aee, v24
	v_fmamk_f16 v24, v26, 0x3aee, v27
	v_add_f16_e32 v31, v1, v28
	v_fmac_f16_e32 v27, 0xbaee, v26
	v_add_f16_e32 v26, v4, v6
	v_fmac_f16_e32 v1, -0.5, v13
	v_sub_f16_e32 v13, v4, v6
	v_add_f16_e32 v4, v30, v4
	v_add_f16_e32 v31, v31, v14
	v_fmac_f16_e32 v30, -0.5, v26
	v_sub_f16_e32 v14, v28, v14
	v_lshrrev_b32_e32 v33, 16, v19
	v_add_f16_e32 v4, v4, v6
	v_add_f16_e32 v6, v15, v16
	v_fmamk_f16 v26, v13, 0xbaee, v1
	v_fmac_f16_e32 v1, 0x3aee, v13
	v_fmamk_f16 v13, v14, 0x3aee, v30
	v_fmac_f16_e32 v30, 0xbaee, v14
	v_add_f16_e32 v14, v5, v7
	v_add_f16_e32 v28, v19, v15
	v_fma_f16 v6, -0.5, v6, v19
	v_sub_f16_e32 v19, v5, v7
	v_add_f16_e32 v5, v33, v5
	v_fmac_f16_e32 v33, -0.5, v14
	v_sub_f16_e32 v14, v15, v16
	v_lshrrev_b32_e32 v40, 16, v20
	v_add_f16_e32 v28, v28, v16
	v_add_f16_e32 v5, v5, v7
	;; [unrolled: 1-line block ×3, first 2 shown]
	v_fmamk_f16 v16, v14, 0x3aee, v33
	v_fmac_f16_e32 v33, 0xbaee, v14
	v_add_f16_e32 v14, v11, v12
	v_fmamk_f16 v15, v19, 0xbaee, v6
	v_fmac_f16_e32 v6, 0x3aee, v19
	v_add_f16_e32 v19, v20, v17
	v_fmac_f16_e32 v20, -0.5, v7
	v_sub_f16_e32 v7, v11, v12
	v_add_f16_e32 v11, v40, v11
	v_fmac_f16_e32 v40, -0.5, v14
	v_sub_f16_e32 v14, v17, v18
	v_lshrrev_b32_e32 v43, 16, v2
	v_fmamk_f16 v17, v7, 0xbaee, v20
	v_fmac_f16_e32 v20, 0x3aee, v7
	v_add_f16_e32 v7, v11, v12
	v_add_f16_e32 v11, v23, v25
	v_fmamk_f16 v12, v14, 0x3aee, v40
	v_fmac_f16_e32 v40, 0xbaee, v14
	v_add_f16_e32 v14, v9, v10
	v_add_f16_e32 v21, v21, v58
	;; [unrolled: 1-line block ×4, first 2 shown]
	v_fmac_f16_e32 v2, -0.5, v11
	v_sub_f16_e32 v11, v9, v10
	v_add_f16_e32 v9, v43, v9
	v_fmac_f16_e32 v43, -0.5, v14
	v_sub_f16_e32 v14, v23, v25
	v_pack_b32_f16 v3, v21, v3
	v_pack_b32_f16 v4, v31, v4
	v_fmamk_f16 v23, v11, 0xbaee, v2
	v_fmac_f16_e32 v2, 0x3aee, v11
	v_pack_b32_f16 v11, v29, v24
	v_pack_b32_f16 v13, v26, v13
	;; [unrolled: 1-line block ×4, first 2 shown]
	v_add_f16_e32 v18, v18, v25
	v_add_f16_e32 v9, v9, v10
	v_pack_b32_f16 v5, v28, v5
	v_fmamk_f16 v10, v14, 0x3aee, v43
	v_fmac_f16_e32 v43, 0xbaee, v14
	ds_store_2addr_b32 v47, v3, v4 offset1:17
	ds_store_2addr_b32 v47, v11, v13 offset0:85 offset1:102
	ds_store_2addr_b32 v47, v0, v1 offset0:170 offset1:187
	ds_store_b32 v47, v5 offset:136
	v_pack_b32_f16 v0, v15, v16
	v_pack_b32_f16 v1, v6, v33
	;; [unrolled: 1-line block ×8, first 2 shown]
	ds_store_2addr_b32 v67, v0, v1 offset0:85 offset1:170
	ds_store_b32 v47, v3 offset:204
	ds_store_2addr_b32 v66, v4, v5 offset0:85 offset1:170
	ds_store_b32 v47, v6 offset:272
	ds_store_2addr_b32 v22, v7, v2 offset0:85 offset1:170
	global_wb scope:SCOPE_SE
	s_wait_dscnt 0x0
	s_barrier_signal -1
	s_barrier_wait -1
	global_inv scope:SCOPE_SE
	s_and_b32 exec_lo, exec_lo, vcc_lo
	s_cbranch_execz .LBB0_15
; %bb.14:
	global_load_b32 v0, v36, s[12:13]
	ds_load_b32 v1, v47
	s_mov_b32 s8, 0x10101010
	s_mov_b32 s9, 0x3f701010
	v_mad_co_u64_u32 v[6:7], null, s4, v38, 0
	s_wait_dscnt 0x0
	v_lshrrev_b32_e32 v2, 16, v1
	s_wait_loadcnt 0x0
	v_lshrrev_b32_e32 v3, 16, v0
	s_delay_alu instid0(VALU_DEP_1) | instskip(SKIP_1) | instid1(VALU_DEP_2)
	v_mul_f16_e32 v4, v2, v3
	v_mul_f16_e32 v3, v1, v3
	v_fmac_f16_e32 v4, v1, v0
	s_delay_alu instid0(VALU_DEP_2) | instskip(NEXT) | instid1(VALU_DEP_2)
	v_fma_f16 v0, v0, v2, -v3
	v_cvt_f32_f16_e32 v1, v4
	s_delay_alu instid0(VALU_DEP_2) | instskip(SKIP_1) | instid1(VALU_DEP_3)
	v_cvt_f32_f16_e32 v2, v0
	v_mad_co_u64_u32 v[4:5], null, s6, v8, 0
	v_cvt_f64_f32_e32 v[0:1], v1
	s_delay_alu instid0(VALU_DEP_3) | instskip(SKIP_1) | instid1(VALU_DEP_2)
	v_cvt_f64_f32_e32 v[2:3], v2
	s_wait_alu 0xfffe
	v_mul_f64_e32 v[0:1], s[8:9], v[0:1]
	s_delay_alu instid0(VALU_DEP_2) | instskip(NEXT) | instid1(VALU_DEP_2)
	v_mul_f64_e32 v[2:3], s[8:9], v[2:3]
	v_and_or_b32 v0, 0x1ff, v1, v0
	s_delay_alu instid0(VALU_DEP_2)
	v_and_or_b32 v2, 0x1ff, v3, v2
	v_lshrrev_b32_e32 v9, 8, v1
	v_bfe_u32 v10, v1, 20, 11
	v_bfe_u32 v12, v3, 20, 11
	v_cmp_ne_u32_e32 vcc_lo, 0, v0
	v_lshrrev_b32_e32 v11, 8, v3
	v_mov_b32_e32 v0, v7
	v_sub_nc_u32_e32 v14, 0x3f1, v10
	v_sub_nc_u32_e32 v15, 0x3f1, v12
	v_cndmask_b32_e64 v13, 0, 1, vcc_lo
	v_cmp_ne_u32_e32 vcc_lo, 0, v2
	v_mad_co_u64_u32 v[7:8], null, s7, v8, v[5:6]
	v_add_nc_u32_e32 v10, 0xfffffc10, v10
	s_delay_alu instid0(VALU_DEP_4)
	v_and_or_b32 v13, 0xffe, v9, v13
	s_wait_alu 0xfffd
	v_cndmask_b32_e64 v2, 0, 1, vcc_lo
	v_add_nc_u32_e32 v12, 0xfffffc10, v12
	v_lshrrev_b32_e32 v3, 16, v3
	s_mul_u64 s[6:7], s[4:5], 60
	v_mov_b32_e32 v5, v7
	v_and_or_b32 v2, 0xffe, v11, v2
	v_med3_i32 v11, v14, 0, 13
	v_med3_i32 v14, v15, 0, 13
	v_or_b32_e32 v15, 0x1000, v13
	v_mad_co_u64_u32 v[8:9], null, s5, v38, v[0:1]
	v_or_b32_e32 v16, 0x1000, v2
	v_lshrrev_b32_e32 v1, 16, v1
	s_delay_alu instid0(VALU_DEP_4) | instskip(SKIP_1) | instid1(VALU_DEP_4)
	v_lshrrev_b32_e32 v0, v11, v15
	v_lshlrev_b64_e32 v[4:5], 2, v[4:5]
	v_lshrrev_b32_e32 v9, v14, v16
	v_mov_b32_e32 v7, v8
	s_delay_alu instid0(VALU_DEP_4) | instskip(NEXT) | instid1(VALU_DEP_3)
	v_lshlrev_b32_e32 v11, v11, v0
	v_lshlrev_b32_e32 v8, v14, v9
	v_lshl_or_b32 v14, v10, 12, v13
	s_delay_alu instid0(VALU_DEP_3) | instskip(SKIP_4) | instid1(VALU_DEP_2)
	v_cmp_ne_u32_e32 vcc_lo, v11, v15
	v_lshlrev_b64_e32 v[6:7], 2, v[6:7]
	s_wait_alu 0xfffd
	v_cndmask_b32_e64 v11, 0, 1, vcc_lo
	v_cmp_ne_u32_e32 vcc_lo, v8, v16
	v_or_b32_e32 v0, v0, v11
	s_wait_alu 0xfffd
	v_cndmask_b32_e64 v8, 0, 1, vcc_lo
	v_cmp_gt_i32_e32 vcc_lo, 1, v10
	v_lshl_or_b32 v11, v12, 12, v2
	s_delay_alu instid0(VALU_DEP_3)
	v_or_b32_e32 v8, v9, v8
	s_wait_alu 0xfffd
	v_cndmask_b32_e32 v0, v14, v0, vcc_lo
	v_cmp_gt_i32_e32 vcc_lo, 1, v12
	s_wait_alu 0xfffd
	v_cndmask_b32_e32 v8, v11, v8, vcc_lo
	v_cmp_ne_u32_e32 vcc_lo, 0, v13
	s_delay_alu instid0(VALU_DEP_2)
	v_and_b32_e32 v13, 7, v8
	s_wait_alu 0xfffd
	v_cndmask_b32_e64 v9, 0, 1, vcc_lo
	v_cmp_ne_u32_e32 vcc_lo, 0, v2
	v_lshrrev_b32_e32 v8, 2, v8
	v_cmp_lt_i32_e64 s1, 5, v13
	v_cmp_eq_u32_e64 s2, 3, v13
	s_wait_alu 0xfffd
	v_cndmask_b32_e64 v2, 0, 1, vcc_lo
	v_lshl_or_b32 v9, v9, 9, 0x7c00
	s_delay_alu instid0(VALU_DEP_2) | instskip(SKIP_2) | instid1(VALU_DEP_2)
	v_lshl_or_b32 v2, v2, 9, 0x7c00
	v_and_b32_e32 v11, 7, v0
	v_lshrrev_b32_e32 v0, 2, v0
	v_cmp_lt_i32_e32 vcc_lo, 5, v11
	v_cmp_eq_u32_e64 s0, 3, v11
	s_delay_alu instid0(VALU_DEP_1)
	s_or_b32 vcc_lo, s0, vcc_lo
	s_wait_alu 0xfffe
	v_add_co_ci_u32_e32 v0, vcc_lo, 0, v0, vcc_lo
	s_or_b32 vcc_lo, s2, s1
	s_wait_alu 0xfffe
	v_add_co_ci_u32_e32 v8, vcc_lo, 0, v8, vcc_lo
	v_cmp_gt_i32_e32 vcc_lo, 31, v10
	s_wait_alu 0xfffd
	v_cndmask_b32_e32 v0, 0x7c00, v0, vcc_lo
	v_cmp_gt_i32_e32 vcc_lo, 31, v12
	s_wait_alu 0xfffd
	v_cndmask_b32_e32 v8, 0x7c00, v8, vcc_lo
	v_cmp_eq_u32_e32 vcc_lo, 0x40f, v10
	s_wait_alu 0xfffd
	v_cndmask_b32_e32 v0, v0, v9, vcc_lo
	v_cmp_eq_u32_e32 vcc_lo, 0x40f, v12
	s_wait_alu 0xfffd
	v_cndmask_b32_e32 v2, v8, v2, vcc_lo
	s_delay_alu instid0(VALU_DEP_3)
	v_and_or_b32 v8, 0x8000, v1, v0
	v_add_co_u32 v0, vcc_lo, s14, v4
	s_wait_alu 0xfffd
	v_add_co_ci_u32_e32 v1, vcc_lo, s15, v5, vcc_lo
	v_and_or_b32 v2, 0x8000, v3, v2
	v_and_b32_e32 v5, 0xffff, v8
	v_add_co_u32 v3, vcc_lo, v0, v6
	s_wait_alu 0xfffd
	v_add_co_ci_u32_e32 v4, vcc_lo, v1, v7, vcc_lo
	s_delay_alu instid0(VALU_DEP_3)
	v_lshl_or_b32 v2, v2, 16, v5
	global_store_b32 v[3:4], v2, off
	global_load_b32 v7, v36, s[12:13] offset:60
	v_lshl_add_u32 v2, v37, 2, v36
	ds_load_2addr_b32 v[5:6], v2 offset0:15 offset1:30
	s_wait_dscnt 0x0
	v_lshrrev_b32_e32 v8, 16, v5
	s_wait_loadcnt 0x0
	v_lshrrev_b32_e32 v9, 16, v7
	s_delay_alu instid0(VALU_DEP_1) | instskip(SKIP_1) | instid1(VALU_DEP_2)
	v_mul_f16_e32 v10, v8, v9
	v_mul_f16_e32 v9, v5, v9
	v_fmac_f16_e32 v10, v5, v7
	s_delay_alu instid0(VALU_DEP_2) | instskip(NEXT) | instid1(VALU_DEP_2)
	v_fma_f16 v5, v7, v8, -v9
	v_cvt_f32_f16_e32 v7, v10
	s_delay_alu instid0(VALU_DEP_2) | instskip(NEXT) | instid1(VALU_DEP_2)
	v_cvt_f32_f16_e32 v5, v5
	v_cvt_f64_f32_e32 v[7:8], v7
	s_delay_alu instid0(VALU_DEP_2) | instskip(NEXT) | instid1(VALU_DEP_2)
	v_cvt_f64_f32_e32 v[9:10], v5
	v_mul_f64_e32 v[7:8], s[8:9], v[7:8]
	s_delay_alu instid0(VALU_DEP_2) | instskip(NEXT) | instid1(VALU_DEP_2)
	v_mul_f64_e32 v[9:10], s[8:9], v[9:10]
	v_and_or_b32 v5, 0x1ff, v8, v7
	s_delay_alu instid0(VALU_DEP_2)
	v_and_or_b32 v9, 0x1ff, v10, v9
	v_lshrrev_b32_e32 v7, 8, v8
	v_bfe_u32 v11, v8, 20, 11
	v_lshrrev_b32_e32 v12, 8, v10
	v_cmp_ne_u32_e32 vcc_lo, 0, v5
	v_bfe_u32 v13, v10, 20, 11
	v_lshrrev_b32_e32 v8, 16, v8
	v_sub_nc_u32_e32 v14, 0x3f1, v11
	v_add_nc_u32_e32 v11, 0xfffffc10, v11
	s_wait_alu 0xfffd
	v_cndmask_b32_e64 v5, 0, 1, vcc_lo
	v_cmp_ne_u32_e32 vcc_lo, 0, v9
	v_lshrrev_b32_e32 v10, 16, v10
	s_delay_alu instid0(VALU_DEP_3) | instskip(SKIP_3) | instid1(VALU_DEP_2)
	v_and_or_b32 v5, 0xffe, v7, v5
	s_wait_alu 0xfffd
	v_cndmask_b32_e64 v9, 0, 1, vcc_lo
	v_sub_nc_u32_e32 v7, 0x3f1, v13
	v_and_or_b32 v9, 0xffe, v12, v9
	v_med3_i32 v12, v14, 0, 13
	v_or_b32_e32 v14, 0x1000, v5
	s_delay_alu instid0(VALU_DEP_4) | instskip(NEXT) | instid1(VALU_DEP_4)
	v_med3_i32 v7, v7, 0, 13
	v_or_b32_e32 v15, 0x1000, v9
	s_delay_alu instid0(VALU_DEP_3) | instskip(NEXT) | instid1(VALU_DEP_2)
	v_lshrrev_b32_e32 v16, v12, v14
	v_lshrrev_b32_e32 v17, v7, v15
	s_delay_alu instid0(VALU_DEP_2) | instskip(NEXT) | instid1(VALU_DEP_2)
	v_lshlrev_b32_e32 v12, v12, v16
	v_lshlrev_b32_e32 v7, v7, v17
	s_delay_alu instid0(VALU_DEP_2) | instskip(SKIP_4) | instid1(VALU_DEP_2)
	v_cmp_ne_u32_e32 vcc_lo, v12, v14
	v_lshl_or_b32 v14, v11, 12, v5
	s_wait_alu 0xfffd
	v_cndmask_b32_e64 v12, 0, 1, vcc_lo
	v_cmp_ne_u32_e32 vcc_lo, v7, v15
	v_or_b32_e32 v12, v16, v12
	s_wait_alu 0xfffd
	v_cndmask_b32_e64 v7, 0, 1, vcc_lo
	v_cmp_gt_i32_e32 vcc_lo, 1, v11
	v_add_nc_u32_e32 v13, 0xfffffc10, v13
	s_delay_alu instid0(VALU_DEP_3) | instskip(SKIP_2) | instid1(VALU_DEP_3)
	v_or_b32_e32 v7, v17, v7
	s_wait_alu 0xfffd
	v_cndmask_b32_e32 v12, v14, v12, vcc_lo
	v_lshl_or_b32 v15, v13, 12, v9
	v_cmp_gt_i32_e32 vcc_lo, 1, v13
	s_wait_alu 0xfffd
	s_delay_alu instid0(VALU_DEP_2) | instskip(SKIP_1) | instid1(VALU_DEP_2)
	v_cndmask_b32_e32 v7, v15, v7, vcc_lo
	v_cmp_ne_u32_e32 vcc_lo, 0, v5
	v_and_b32_e32 v15, 7, v7
	s_wait_alu 0xfffd
	v_cndmask_b32_e64 v5, 0, 1, vcc_lo
	v_cmp_ne_u32_e32 vcc_lo, 0, v9
	v_lshrrev_b32_e32 v7, 2, v7
	v_cmp_lt_i32_e64 s1, 5, v15
	s_delay_alu instid0(VALU_DEP_4)
	v_lshl_or_b32 v5, v5, 9, 0x7c00
	v_and_b32_e32 v14, 7, v12
	s_wait_alu 0xfffd
	v_cndmask_b32_e64 v9, 0, 1, vcc_lo
	v_lshrrev_b32_e32 v12, 2, v12
	v_cmp_eq_u32_e64 s2, 3, v15
	v_cmp_lt_i32_e32 vcc_lo, 5, v14
	v_cmp_eq_u32_e64 s0, 3, v14
	v_lshl_or_b32 v9, v9, 9, 0x7c00
	s_delay_alu instid0(VALU_DEP_2)
	s_or_b32 vcc_lo, s0, vcc_lo
	s_wait_alu 0xfffe
	v_add_co_ci_u32_e32 v12, vcc_lo, 0, v12, vcc_lo
	s_or_b32 vcc_lo, s2, s1
	s_wait_alu 0xfffe
	v_add_co_ci_u32_e32 v7, vcc_lo, 0, v7, vcc_lo
	v_cmp_gt_i32_e32 vcc_lo, 31, v11
	s_wait_alu 0xfffd
	v_cndmask_b32_e32 v12, 0x7c00, v12, vcc_lo
	v_cmp_gt_i32_e32 vcc_lo, 31, v13
	s_wait_alu 0xfffd
	v_cndmask_b32_e32 v7, 0x7c00, v7, vcc_lo
	v_cmp_eq_u32_e32 vcc_lo, 0x40f, v11
	s_wait_alu 0xfffd
	v_cndmask_b32_e32 v5, v12, v5, vcc_lo
	v_cmp_eq_u32_e32 vcc_lo, 0x40f, v13
	s_delay_alu instid0(VALU_DEP_2)
	v_and_or_b32 v5, 0x8000, v8, v5
	s_wait_alu 0xfffd
	v_cndmask_b32_e32 v7, v7, v9, vcc_lo
	v_add_co_u32 v3, vcc_lo, v3, s6
	s_wait_alu 0xfffd
	v_add_co_ci_u32_e32 v4, vcc_lo, s7, v4, vcc_lo
	s_delay_alu instid0(VALU_DEP_3) | instskip(SKIP_1) | instid1(VALU_DEP_1)
	v_and_or_b32 v7, 0x8000, v10, v7
	v_and_b32_e32 v5, 0xffff, v5
	v_lshl_or_b32 v5, v7, 16, v5
	v_lshrrev_b32_e32 v7, 16, v6
	global_store_b32 v[3:4], v5, off
	global_load_b32 v5, v36, s[12:13] offset:120
	s_wait_loadcnt 0x0
	v_lshrrev_b32_e32 v8, 16, v5
	s_delay_alu instid0(VALU_DEP_1) | instskip(SKIP_1) | instid1(VALU_DEP_2)
	v_mul_f16_e32 v9, v7, v8
	v_mul_f16_e32 v8, v6, v8
	v_fmac_f16_e32 v9, v6, v5
	s_delay_alu instid0(VALU_DEP_2) | instskip(NEXT) | instid1(VALU_DEP_2)
	v_fma_f16 v5, v5, v7, -v8
	v_cvt_f32_f16_e32 v6, v9
	s_delay_alu instid0(VALU_DEP_2) | instskip(NEXT) | instid1(VALU_DEP_2)
	v_cvt_f32_f16_e32 v7, v5
	v_cvt_f64_f32_e32 v[5:6], v6
	s_delay_alu instid0(VALU_DEP_2) | instskip(NEXT) | instid1(VALU_DEP_2)
	v_cvt_f64_f32_e32 v[7:8], v7
	v_mul_f64_e32 v[5:6], s[8:9], v[5:6]
	s_delay_alu instid0(VALU_DEP_2) | instskip(NEXT) | instid1(VALU_DEP_2)
	v_mul_f64_e32 v[7:8], s[8:9], v[7:8]
	v_and_or_b32 v5, 0x1ff, v6, v5
	s_delay_alu instid0(VALU_DEP_2)
	v_and_or_b32 v7, 0x1ff, v8, v7
	v_lshrrev_b32_e32 v9, 8, v6
	v_bfe_u32 v10, v6, 20, 11
	v_lshrrev_b32_e32 v11, 8, v8
	v_cmp_ne_u32_e32 vcc_lo, 0, v5
	v_bfe_u32 v12, v8, 20, 11
	v_lshrrev_b32_e32 v6, 16, v6
	v_sub_nc_u32_e32 v13, 0x3f1, v10
	v_lshrrev_b32_e32 v8, 16, v8
	s_wait_alu 0xfffd
	v_cndmask_b32_e64 v5, 0, 1, vcc_lo
	v_cmp_ne_u32_e32 vcc_lo, 0, v7
	s_delay_alu instid0(VALU_DEP_2) | instskip(SKIP_3) | instid1(VALU_DEP_2)
	v_and_or_b32 v5, 0xffe, v9, v5
	s_wait_alu 0xfffd
	v_cndmask_b32_e64 v7, 0, 1, vcc_lo
	v_sub_nc_u32_e32 v9, 0x3f1, v12
	v_and_or_b32 v7, 0xffe, v11, v7
	v_med3_i32 v11, v13, 0, 13
	v_or_b32_e32 v13, 0x1000, v5
	s_delay_alu instid0(VALU_DEP_4) | instskip(NEXT) | instid1(VALU_DEP_4)
	v_med3_i32 v9, v9, 0, 13
	v_or_b32_e32 v14, 0x1000, v7
	s_delay_alu instid0(VALU_DEP_3) | instskip(NEXT) | instid1(VALU_DEP_2)
	v_lshrrev_b32_e32 v15, v11, v13
	v_lshrrev_b32_e32 v16, v9, v14
	s_delay_alu instid0(VALU_DEP_2) | instskip(NEXT) | instid1(VALU_DEP_2)
	v_lshlrev_b32_e32 v11, v11, v15
	v_lshlrev_b32_e32 v9, v9, v16
	s_delay_alu instid0(VALU_DEP_2) | instskip(SKIP_2) | instid1(VALU_DEP_3)
	v_cmp_ne_u32_e32 vcc_lo, v11, v13
	s_wait_alu 0xfffd
	v_cndmask_b32_e64 v11, 0, 1, vcc_lo
	v_cmp_ne_u32_e32 vcc_lo, v9, v14
	s_delay_alu instid0(VALU_DEP_2) | instskip(SKIP_3) | instid1(VALU_DEP_2)
	v_or_b32_e32 v11, v15, v11
	v_add_nc_u32_e32 v10, 0xfffffc10, v10
	s_wait_alu 0xfffd
	v_cndmask_b32_e64 v9, 0, 1, vcc_lo
	v_lshl_or_b32 v13, v10, 12, v5
	s_delay_alu instid0(VALU_DEP_2) | instskip(SKIP_2) | instid1(VALU_DEP_2)
	v_or_b32_e32 v9, v16, v9
	v_add_nc_u32_e32 v12, 0xfffffc10, v12
	v_cmp_gt_i32_e32 vcc_lo, 1, v10
	v_lshl_or_b32 v14, v12, 12, v7
	s_wait_alu 0xfffd
	v_cndmask_b32_e32 v11, v13, v11, vcc_lo
	v_cmp_gt_i32_e32 vcc_lo, 1, v12
	s_delay_alu instid0(VALU_DEP_2)
	v_and_b32_e32 v13, 7, v11
	s_wait_alu 0xfffd
	v_cndmask_b32_e32 v9, v14, v9, vcc_lo
	v_cmp_ne_u32_e32 vcc_lo, 0, v5
	v_lshrrev_b32_e32 v11, 2, v11
	v_cmp_eq_u32_e64 s0, 3, v13
	s_wait_alu 0xfffd
	v_cndmask_b32_e64 v5, 0, 1, vcc_lo
	v_cmp_ne_u32_e32 vcc_lo, 0, v7
	s_delay_alu instid0(VALU_DEP_2) | instskip(SKIP_3) | instid1(VALU_DEP_2)
	v_lshl_or_b32 v5, v5, 9, 0x7c00
	s_wait_alu 0xfffd
	v_cndmask_b32_e64 v7, 0, 1, vcc_lo
	v_cmp_lt_i32_e32 vcc_lo, 5, v13
	v_lshl_or_b32 v7, v7, 9, 0x7c00
	s_or_b32 vcc_lo, s0, vcc_lo
	s_wait_alu 0xfffe
	v_add_co_ci_u32_e32 v11, vcc_lo, 0, v11, vcc_lo
	v_and_b32_e32 v14, 7, v9
	v_lshrrev_b32_e32 v9, 2, v9
	s_delay_alu instid0(VALU_DEP_2) | instskip(SKIP_1) | instid1(VALU_DEP_1)
	v_cmp_lt_i32_e64 s1, 5, v14
	v_cmp_eq_u32_e64 s2, 3, v14
	s_or_b32 vcc_lo, s2, s1
	s_wait_alu 0xfffe
	v_add_co_ci_u32_e32 v9, vcc_lo, 0, v9, vcc_lo
	v_cmp_gt_i32_e32 vcc_lo, 31, v10
	s_wait_alu 0xfffd
	v_cndmask_b32_e32 v11, 0x7c00, v11, vcc_lo
	v_cmp_gt_i32_e32 vcc_lo, 31, v12
	s_wait_alu 0xfffd
	v_cndmask_b32_e32 v9, 0x7c00, v9, vcc_lo
	v_cmp_eq_u32_e32 vcc_lo, 0x40f, v10
	s_wait_alu 0xfffd
	v_cndmask_b32_e32 v5, v11, v5, vcc_lo
	v_cmp_eq_u32_e32 vcc_lo, 0x40f, v12
	s_delay_alu instid0(VALU_DEP_2)
	v_and_or_b32 v5, 0x8000, v6, v5
	s_wait_alu 0xfffd
	v_cndmask_b32_e32 v7, v9, v7, vcc_lo
	v_add_co_u32 v3, vcc_lo, v3, s6
	s_wait_alu 0xfffd
	v_add_co_ci_u32_e32 v4, vcc_lo, s7, v4, vcc_lo
	s_delay_alu instid0(VALU_DEP_3) | instskip(SKIP_1) | instid1(VALU_DEP_1)
	v_and_or_b32 v6, 0x8000, v8, v7
	v_and_b32_e32 v5, 0xffff, v5
	v_lshl_or_b32 v5, v6, 16, v5
	global_store_b32 v[3:4], v5, off
	global_load_b32 v7, v36, s[12:13] offset:180
	ds_load_2addr_b32 v[5:6], v2 offset0:45 offset1:60
	s_wait_dscnt 0x0
	v_lshrrev_b32_e32 v8, 16, v5
	s_wait_loadcnt 0x0
	v_lshrrev_b32_e32 v9, 16, v7
	s_delay_alu instid0(VALU_DEP_1) | instskip(SKIP_1) | instid1(VALU_DEP_2)
	v_mul_f16_e32 v10, v8, v9
	v_mul_f16_e32 v9, v5, v9
	v_fmac_f16_e32 v10, v5, v7
	s_delay_alu instid0(VALU_DEP_2) | instskip(NEXT) | instid1(VALU_DEP_2)
	v_fma_f16 v5, v7, v8, -v9
	v_cvt_f32_f16_e32 v7, v10
	s_delay_alu instid0(VALU_DEP_2) | instskip(NEXT) | instid1(VALU_DEP_2)
	v_cvt_f32_f16_e32 v5, v5
	v_cvt_f64_f32_e32 v[7:8], v7
	s_delay_alu instid0(VALU_DEP_2) | instskip(NEXT) | instid1(VALU_DEP_2)
	v_cvt_f64_f32_e32 v[9:10], v5
	v_mul_f64_e32 v[7:8], s[8:9], v[7:8]
	s_delay_alu instid0(VALU_DEP_2) | instskip(NEXT) | instid1(VALU_DEP_2)
	v_mul_f64_e32 v[9:10], s[8:9], v[9:10]
	v_and_or_b32 v5, 0x1ff, v8, v7
	s_delay_alu instid0(VALU_DEP_2)
	v_and_or_b32 v9, 0x1ff, v10, v9
	v_lshrrev_b32_e32 v7, 8, v8
	v_bfe_u32 v11, v8, 20, 11
	v_lshrrev_b32_e32 v12, 8, v10
	v_cmp_ne_u32_e32 vcc_lo, 0, v5
	v_bfe_u32 v13, v10, 20, 11
	v_lshrrev_b32_e32 v8, 16, v8
	v_sub_nc_u32_e32 v14, 0x3f1, v11
	v_add_nc_u32_e32 v11, 0xfffffc10, v11
	s_wait_alu 0xfffd
	v_cndmask_b32_e64 v5, 0, 1, vcc_lo
	v_cmp_ne_u32_e32 vcc_lo, 0, v9
	v_lshrrev_b32_e32 v10, 16, v10
	s_delay_alu instid0(VALU_DEP_3) | instskip(SKIP_4) | instid1(VALU_DEP_3)
	v_and_or_b32 v5, 0xffe, v7, v5
	s_wait_alu 0xfffd
	v_cndmask_b32_e64 v9, 0, 1, vcc_lo
	v_sub_nc_u32_e32 v7, 0x3f1, v13
	v_add_nc_u32_e32 v13, 0xfffffc10, v13
	v_and_or_b32 v9, 0xffe, v12, v9
	v_med3_i32 v12, v14, 0, 13
	v_or_b32_e32 v14, 0x1000, v5
	v_med3_i32 v7, v7, 0, 13
	s_delay_alu instid0(VALU_DEP_4) | instskip(NEXT) | instid1(VALU_DEP_3)
	v_or_b32_e32 v15, 0x1000, v9
	v_lshrrev_b32_e32 v16, v12, v14
	s_delay_alu instid0(VALU_DEP_2) | instskip(NEXT) | instid1(VALU_DEP_2)
	v_lshrrev_b32_e32 v17, v7, v15
	v_lshlrev_b32_e32 v12, v12, v16
	s_delay_alu instid0(VALU_DEP_2) | instskip(NEXT) | instid1(VALU_DEP_2)
	v_lshlrev_b32_e32 v7, v7, v17
	v_cmp_ne_u32_e32 vcc_lo, v12, v14
	v_lshl_or_b32 v14, v11, 12, v5
	s_wait_alu 0xfffd
	v_cndmask_b32_e64 v12, 0, 1, vcc_lo
	v_cmp_ne_u32_e32 vcc_lo, v7, v15
	v_lshl_or_b32 v15, v13, 12, v9
	s_delay_alu instid0(VALU_DEP_3) | instskip(SKIP_3) | instid1(VALU_DEP_2)
	v_or_b32_e32 v12, v16, v12
	s_wait_alu 0xfffd
	v_cndmask_b32_e64 v7, 0, 1, vcc_lo
	v_cmp_gt_i32_e32 vcc_lo, 1, v11
	v_or_b32_e32 v7, v17, v7
	s_wait_alu 0xfffd
	v_cndmask_b32_e32 v12, v14, v12, vcc_lo
	v_cmp_gt_i32_e32 vcc_lo, 1, v13
	s_wait_alu 0xfffd
	s_delay_alu instid0(VALU_DEP_2) | instskip(SKIP_2) | instid1(VALU_DEP_3)
	v_dual_cndmask_b32 v7, v15, v7 :: v_dual_and_b32 v14, 7, v12
	v_cmp_ne_u32_e32 vcc_lo, 0, v5
	v_lshrrev_b32_e32 v12, 2, v12
	v_cmp_eq_u32_e64 s0, 3, v14
	s_delay_alu instid0(VALU_DEP_4)
	v_and_b32_e32 v15, 7, v7
	s_wait_alu 0xfffd
	v_cndmask_b32_e64 v5, 0, 1, vcc_lo
	v_cmp_ne_u32_e32 vcc_lo, 0, v9
	v_lshrrev_b32_e32 v7, 2, v7
	v_cmp_lt_i32_e64 s1, 5, v15
	v_cmp_eq_u32_e64 s2, 3, v15
	s_wait_alu 0xfffd
	v_cndmask_b32_e64 v9, 0, 1, vcc_lo
	v_cmp_lt_i32_e32 vcc_lo, 5, v14
	v_lshl_or_b32 v5, v5, 9, 0x7c00
	s_delay_alu instid0(VALU_DEP_3)
	v_lshl_or_b32 v9, v9, 9, 0x7c00
	s_or_b32 vcc_lo, s0, vcc_lo
	s_wait_alu 0xfffe
	v_add_co_ci_u32_e32 v12, vcc_lo, 0, v12, vcc_lo
	s_or_b32 vcc_lo, s2, s1
	s_wait_alu 0xfffe
	v_add_co_ci_u32_e32 v7, vcc_lo, 0, v7, vcc_lo
	v_cmp_gt_i32_e32 vcc_lo, 31, v11
	s_wait_alu 0xfffd
	v_cndmask_b32_e32 v12, 0x7c00, v12, vcc_lo
	v_cmp_gt_i32_e32 vcc_lo, 31, v13
	s_wait_alu 0xfffd
	v_cndmask_b32_e32 v7, 0x7c00, v7, vcc_lo
	v_cmp_eq_u32_e32 vcc_lo, 0x40f, v11
	s_wait_alu 0xfffd
	v_cndmask_b32_e32 v5, v12, v5, vcc_lo
	v_cmp_eq_u32_e32 vcc_lo, 0x40f, v13
	s_delay_alu instid0(VALU_DEP_2)
	v_and_or_b32 v5, 0x8000, v8, v5
	s_wait_alu 0xfffd
	v_cndmask_b32_e32 v7, v7, v9, vcc_lo
	v_add_co_u32 v3, vcc_lo, v3, s6
	s_wait_alu 0xfffd
	v_add_co_ci_u32_e32 v4, vcc_lo, s7, v4, vcc_lo
	s_delay_alu instid0(VALU_DEP_3) | instskip(SKIP_1) | instid1(VALU_DEP_1)
	v_and_or_b32 v7, 0x8000, v10, v7
	v_and_b32_e32 v5, 0xffff, v5
	v_lshl_or_b32 v5, v7, 16, v5
	v_lshrrev_b32_e32 v7, 16, v6
	global_store_b32 v[3:4], v5, off
	global_load_b32 v5, v36, s[12:13] offset:240
	s_wait_loadcnt 0x0
	v_lshrrev_b32_e32 v8, 16, v5
	s_delay_alu instid0(VALU_DEP_1) | instskip(SKIP_1) | instid1(VALU_DEP_2)
	v_mul_f16_e32 v9, v7, v8
	v_mul_f16_e32 v8, v6, v8
	v_fmac_f16_e32 v9, v6, v5
	s_delay_alu instid0(VALU_DEP_2) | instskip(NEXT) | instid1(VALU_DEP_2)
	v_fma_f16 v5, v5, v7, -v8
	v_cvt_f32_f16_e32 v6, v9
	s_delay_alu instid0(VALU_DEP_2) | instskip(NEXT) | instid1(VALU_DEP_2)
	v_cvt_f32_f16_e32 v7, v5
	v_cvt_f64_f32_e32 v[5:6], v6
	s_delay_alu instid0(VALU_DEP_2) | instskip(NEXT) | instid1(VALU_DEP_2)
	v_cvt_f64_f32_e32 v[7:8], v7
	v_mul_f64_e32 v[5:6], s[8:9], v[5:6]
	s_delay_alu instid0(VALU_DEP_2) | instskip(NEXT) | instid1(VALU_DEP_2)
	v_mul_f64_e32 v[7:8], s[8:9], v[7:8]
	v_and_or_b32 v5, 0x1ff, v6, v5
	s_delay_alu instid0(VALU_DEP_2)
	v_and_or_b32 v7, 0x1ff, v8, v7
	v_lshrrev_b32_e32 v9, 8, v6
	v_bfe_u32 v10, v6, 20, 11
	v_lshrrev_b32_e32 v11, 8, v8
	v_cmp_ne_u32_e32 vcc_lo, 0, v5
	v_bfe_u32 v12, v8, 20, 11
	v_lshrrev_b32_e32 v6, 16, v6
	v_sub_nc_u32_e32 v13, 0x3f1, v10
	v_add_nc_u32_e32 v10, 0xfffffc10, v10
	s_wait_alu 0xfffd
	v_cndmask_b32_e64 v5, 0, 1, vcc_lo
	v_cmp_ne_u32_e32 vcc_lo, 0, v7
	v_lshrrev_b32_e32 v8, 16, v8
	s_delay_alu instid0(VALU_DEP_3) | instskip(SKIP_4) | instid1(VALU_DEP_3)
	v_and_or_b32 v5, 0xffe, v9, v5
	s_wait_alu 0xfffd
	v_cndmask_b32_e64 v7, 0, 1, vcc_lo
	v_sub_nc_u32_e32 v9, 0x3f1, v12
	v_add_nc_u32_e32 v12, 0xfffffc10, v12
	v_and_or_b32 v7, 0xffe, v11, v7
	v_med3_i32 v11, v13, 0, 13
	v_or_b32_e32 v13, 0x1000, v5
	v_med3_i32 v9, v9, 0, 13
	s_delay_alu instid0(VALU_DEP_4) | instskip(NEXT) | instid1(VALU_DEP_3)
	v_or_b32_e32 v14, 0x1000, v7
	v_lshrrev_b32_e32 v15, v11, v13
	s_delay_alu instid0(VALU_DEP_2) | instskip(NEXT) | instid1(VALU_DEP_2)
	v_lshrrev_b32_e32 v16, v9, v14
	v_lshlrev_b32_e32 v11, v11, v15
	s_delay_alu instid0(VALU_DEP_2) | instskip(NEXT) | instid1(VALU_DEP_2)
	v_lshlrev_b32_e32 v9, v9, v16
	v_cmp_ne_u32_e32 vcc_lo, v11, v13
	v_lshl_or_b32 v13, v10, 12, v5
	s_wait_alu 0xfffd
	v_cndmask_b32_e64 v11, 0, 1, vcc_lo
	v_cmp_ne_u32_e32 vcc_lo, v9, v14
	v_lshl_or_b32 v14, v12, 12, v7
	s_delay_alu instid0(VALU_DEP_3) | instskip(SKIP_3) | instid1(VALU_DEP_2)
	v_or_b32_e32 v11, v15, v11
	s_wait_alu 0xfffd
	v_cndmask_b32_e64 v9, 0, 1, vcc_lo
	v_cmp_gt_i32_e32 vcc_lo, 1, v10
	v_or_b32_e32 v9, v16, v9
	s_wait_alu 0xfffd
	v_cndmask_b32_e32 v11, v13, v11, vcc_lo
	v_cmp_gt_i32_e32 vcc_lo, 1, v12
	s_delay_alu instid0(VALU_DEP_2)
	v_and_b32_e32 v13, 7, v11
	s_wait_alu 0xfffd
	v_cndmask_b32_e32 v9, v14, v9, vcc_lo
	v_cmp_ne_u32_e32 vcc_lo, 0, v5
	v_lshrrev_b32_e32 v11, 2, v11
	v_cmp_eq_u32_e64 s0, 3, v13
	s_delay_alu instid0(VALU_DEP_4)
	v_and_b32_e32 v14, 7, v9
	s_wait_alu 0xfffd
	v_cndmask_b32_e64 v5, 0, 1, vcc_lo
	v_cmp_ne_u32_e32 vcc_lo, 0, v7
	v_lshrrev_b32_e32 v9, 2, v9
	v_cmp_lt_i32_e64 s1, 5, v14
	v_cmp_eq_u32_e64 s2, 3, v14
	s_wait_alu 0xfffd
	v_cndmask_b32_e64 v7, 0, 1, vcc_lo
	v_cmp_lt_i32_e32 vcc_lo, 5, v13
	v_lshl_or_b32 v5, v5, 9, 0x7c00
	s_delay_alu instid0(VALU_DEP_3)
	v_lshl_or_b32 v7, v7, 9, 0x7c00
	s_or_b32 vcc_lo, s0, vcc_lo
	s_wait_alu 0xfffe
	v_add_co_ci_u32_e32 v11, vcc_lo, 0, v11, vcc_lo
	s_or_b32 vcc_lo, s2, s1
	s_wait_alu 0xfffe
	v_add_co_ci_u32_e32 v9, vcc_lo, 0, v9, vcc_lo
	v_cmp_gt_i32_e32 vcc_lo, 31, v10
	s_wait_alu 0xfffd
	v_cndmask_b32_e32 v11, 0x7c00, v11, vcc_lo
	v_cmp_gt_i32_e32 vcc_lo, 31, v12
	s_wait_alu 0xfffd
	v_cndmask_b32_e32 v9, 0x7c00, v9, vcc_lo
	v_cmp_eq_u32_e32 vcc_lo, 0x40f, v10
	s_wait_alu 0xfffd
	v_cndmask_b32_e32 v5, v11, v5, vcc_lo
	v_cmp_eq_u32_e32 vcc_lo, 0x40f, v12
	s_delay_alu instid0(VALU_DEP_2)
	v_and_or_b32 v5, 0x8000, v6, v5
	s_wait_alu 0xfffd
	v_cndmask_b32_e32 v7, v9, v7, vcc_lo
	v_add_co_u32 v3, vcc_lo, v3, s6
	s_wait_alu 0xfffd
	v_add_co_ci_u32_e32 v4, vcc_lo, s7, v4, vcc_lo
	s_delay_alu instid0(VALU_DEP_3) | instskip(SKIP_1) | instid1(VALU_DEP_1)
	v_and_or_b32 v6, 0x8000, v8, v7
	v_and_b32_e32 v5, 0xffff, v5
	v_lshl_or_b32 v5, v6, 16, v5
	global_store_b32 v[3:4], v5, off
	global_load_b32 v7, v36, s[12:13] offset:300
	ds_load_2addr_b32 v[5:6], v2 offset0:75 offset1:90
	s_wait_dscnt 0x0
	v_lshrrev_b32_e32 v8, 16, v5
	s_wait_loadcnt 0x0
	v_lshrrev_b32_e32 v9, 16, v7
	s_delay_alu instid0(VALU_DEP_1) | instskip(SKIP_1) | instid1(VALU_DEP_2)
	v_mul_f16_e32 v10, v8, v9
	v_mul_f16_e32 v9, v5, v9
	v_fmac_f16_e32 v10, v5, v7
	s_delay_alu instid0(VALU_DEP_2) | instskip(NEXT) | instid1(VALU_DEP_2)
	v_fma_f16 v5, v7, v8, -v9
	v_cvt_f32_f16_e32 v7, v10
	s_delay_alu instid0(VALU_DEP_2) | instskip(NEXT) | instid1(VALU_DEP_2)
	v_cvt_f32_f16_e32 v5, v5
	v_cvt_f64_f32_e32 v[7:8], v7
	s_delay_alu instid0(VALU_DEP_2) | instskip(NEXT) | instid1(VALU_DEP_2)
	v_cvt_f64_f32_e32 v[9:10], v5
	v_mul_f64_e32 v[7:8], s[8:9], v[7:8]
	s_delay_alu instid0(VALU_DEP_2) | instskip(NEXT) | instid1(VALU_DEP_2)
	v_mul_f64_e32 v[9:10], s[8:9], v[9:10]
	v_and_or_b32 v5, 0x1ff, v8, v7
	s_delay_alu instid0(VALU_DEP_2)
	v_and_or_b32 v9, 0x1ff, v10, v9
	v_lshrrev_b32_e32 v7, 8, v8
	v_bfe_u32 v11, v8, 20, 11
	v_lshrrev_b32_e32 v12, 8, v10
	v_cmp_ne_u32_e32 vcc_lo, 0, v5
	v_bfe_u32 v13, v10, 20, 11
	v_lshrrev_b32_e32 v8, 16, v8
	v_sub_nc_u32_e32 v14, 0x3f1, v11
	v_add_nc_u32_e32 v11, 0xfffffc10, v11
	s_wait_alu 0xfffd
	v_cndmask_b32_e64 v5, 0, 1, vcc_lo
	v_cmp_ne_u32_e32 vcc_lo, 0, v9
	v_lshrrev_b32_e32 v10, 16, v10
	s_delay_alu instid0(VALU_DEP_3) | instskip(SKIP_4) | instid1(VALU_DEP_3)
	v_and_or_b32 v5, 0xffe, v7, v5
	s_wait_alu 0xfffd
	v_cndmask_b32_e64 v9, 0, 1, vcc_lo
	v_sub_nc_u32_e32 v7, 0x3f1, v13
	v_add_nc_u32_e32 v13, 0xfffffc10, v13
	v_and_or_b32 v9, 0xffe, v12, v9
	v_med3_i32 v12, v14, 0, 13
	v_or_b32_e32 v14, 0x1000, v5
	v_med3_i32 v7, v7, 0, 13
	s_delay_alu instid0(VALU_DEP_4) | instskip(NEXT) | instid1(VALU_DEP_3)
	v_or_b32_e32 v15, 0x1000, v9
	v_lshrrev_b32_e32 v16, v12, v14
	s_delay_alu instid0(VALU_DEP_2) | instskip(NEXT) | instid1(VALU_DEP_2)
	v_lshrrev_b32_e32 v17, v7, v15
	v_lshlrev_b32_e32 v12, v12, v16
	s_delay_alu instid0(VALU_DEP_2) | instskip(NEXT) | instid1(VALU_DEP_2)
	v_lshlrev_b32_e32 v7, v7, v17
	v_cmp_ne_u32_e32 vcc_lo, v12, v14
	v_lshl_or_b32 v14, v11, 12, v5
	s_wait_alu 0xfffd
	v_cndmask_b32_e64 v12, 0, 1, vcc_lo
	v_cmp_ne_u32_e32 vcc_lo, v7, v15
	v_lshl_or_b32 v15, v13, 12, v9
	s_delay_alu instid0(VALU_DEP_3) | instskip(SKIP_3) | instid1(VALU_DEP_2)
	v_or_b32_e32 v12, v16, v12
	s_wait_alu 0xfffd
	v_cndmask_b32_e64 v7, 0, 1, vcc_lo
	v_cmp_gt_i32_e32 vcc_lo, 1, v11
	v_or_b32_e32 v7, v17, v7
	s_wait_alu 0xfffd
	v_cndmask_b32_e32 v12, v14, v12, vcc_lo
	v_cmp_gt_i32_e32 vcc_lo, 1, v13
	s_wait_alu 0xfffd
	s_delay_alu instid0(VALU_DEP_2) | instskip(SKIP_2) | instid1(VALU_DEP_3)
	v_dual_cndmask_b32 v7, v15, v7 :: v_dual_and_b32 v14, 7, v12
	v_cmp_ne_u32_e32 vcc_lo, 0, v5
	v_lshrrev_b32_e32 v12, 2, v12
	v_cmp_eq_u32_e64 s0, 3, v14
	s_delay_alu instid0(VALU_DEP_4)
	v_and_b32_e32 v15, 7, v7
	s_wait_alu 0xfffd
	v_cndmask_b32_e64 v5, 0, 1, vcc_lo
	v_cmp_ne_u32_e32 vcc_lo, 0, v9
	v_lshrrev_b32_e32 v7, 2, v7
	v_cmp_lt_i32_e64 s1, 5, v15
	v_cmp_eq_u32_e64 s2, 3, v15
	s_wait_alu 0xfffd
	v_cndmask_b32_e64 v9, 0, 1, vcc_lo
	v_cmp_lt_i32_e32 vcc_lo, 5, v14
	v_lshl_or_b32 v5, v5, 9, 0x7c00
	s_delay_alu instid0(VALU_DEP_3)
	v_lshl_or_b32 v9, v9, 9, 0x7c00
	s_or_b32 vcc_lo, s0, vcc_lo
	s_wait_alu 0xfffe
	v_add_co_ci_u32_e32 v12, vcc_lo, 0, v12, vcc_lo
	s_or_b32 vcc_lo, s2, s1
	s_wait_alu 0xfffe
	v_add_co_ci_u32_e32 v7, vcc_lo, 0, v7, vcc_lo
	v_cmp_gt_i32_e32 vcc_lo, 31, v11
	s_wait_alu 0xfffd
	v_cndmask_b32_e32 v12, 0x7c00, v12, vcc_lo
	v_cmp_gt_i32_e32 vcc_lo, 31, v13
	s_wait_alu 0xfffd
	v_cndmask_b32_e32 v7, 0x7c00, v7, vcc_lo
	v_cmp_eq_u32_e32 vcc_lo, 0x40f, v11
	s_wait_alu 0xfffd
	v_cndmask_b32_e32 v5, v12, v5, vcc_lo
	v_cmp_eq_u32_e32 vcc_lo, 0x40f, v13
	s_delay_alu instid0(VALU_DEP_2)
	v_and_or_b32 v5, 0x8000, v8, v5
	s_wait_alu 0xfffd
	v_cndmask_b32_e32 v7, v7, v9, vcc_lo
	v_add_co_u32 v3, vcc_lo, v3, s6
	s_wait_alu 0xfffd
	v_add_co_ci_u32_e32 v4, vcc_lo, s7, v4, vcc_lo
	s_delay_alu instid0(VALU_DEP_3) | instskip(SKIP_1) | instid1(VALU_DEP_1)
	v_and_or_b32 v7, 0x8000, v10, v7
	v_and_b32_e32 v5, 0xffff, v5
	v_lshl_or_b32 v5, v7, 16, v5
	v_lshrrev_b32_e32 v7, 16, v6
	global_store_b32 v[3:4], v5, off
	global_load_b32 v5, v36, s[12:13] offset:360
	s_wait_loadcnt 0x0
	v_lshrrev_b32_e32 v8, 16, v5
	s_delay_alu instid0(VALU_DEP_1) | instskip(SKIP_1) | instid1(VALU_DEP_2)
	v_mul_f16_e32 v9, v7, v8
	v_mul_f16_e32 v8, v6, v8
	v_fmac_f16_e32 v9, v6, v5
	s_delay_alu instid0(VALU_DEP_2) | instskip(NEXT) | instid1(VALU_DEP_2)
	v_fma_f16 v5, v5, v7, -v8
	v_cvt_f32_f16_e32 v6, v9
	s_delay_alu instid0(VALU_DEP_2) | instskip(NEXT) | instid1(VALU_DEP_2)
	v_cvt_f32_f16_e32 v7, v5
	v_cvt_f64_f32_e32 v[5:6], v6
	s_delay_alu instid0(VALU_DEP_2) | instskip(NEXT) | instid1(VALU_DEP_2)
	v_cvt_f64_f32_e32 v[7:8], v7
	v_mul_f64_e32 v[5:6], s[8:9], v[5:6]
	s_delay_alu instid0(VALU_DEP_2) | instskip(NEXT) | instid1(VALU_DEP_2)
	v_mul_f64_e32 v[7:8], s[8:9], v[7:8]
	v_and_or_b32 v5, 0x1ff, v6, v5
	s_delay_alu instid0(VALU_DEP_2)
	v_and_or_b32 v7, 0x1ff, v8, v7
	v_lshrrev_b32_e32 v9, 8, v6
	v_bfe_u32 v10, v6, 20, 11
	v_lshrrev_b32_e32 v11, 8, v8
	v_cmp_ne_u32_e32 vcc_lo, 0, v5
	v_bfe_u32 v12, v8, 20, 11
	v_lshrrev_b32_e32 v6, 16, v6
	v_sub_nc_u32_e32 v13, 0x3f1, v10
	v_add_nc_u32_e32 v10, 0xfffffc10, v10
	s_wait_alu 0xfffd
	v_cndmask_b32_e64 v5, 0, 1, vcc_lo
	v_cmp_ne_u32_e32 vcc_lo, 0, v7
	v_lshrrev_b32_e32 v8, 16, v8
	s_delay_alu instid0(VALU_DEP_3) | instskip(SKIP_4) | instid1(VALU_DEP_3)
	v_and_or_b32 v5, 0xffe, v9, v5
	s_wait_alu 0xfffd
	v_cndmask_b32_e64 v7, 0, 1, vcc_lo
	v_sub_nc_u32_e32 v9, 0x3f1, v12
	v_add_nc_u32_e32 v12, 0xfffffc10, v12
	v_and_or_b32 v7, 0xffe, v11, v7
	v_med3_i32 v11, v13, 0, 13
	v_or_b32_e32 v13, 0x1000, v5
	v_med3_i32 v9, v9, 0, 13
	s_delay_alu instid0(VALU_DEP_4) | instskip(NEXT) | instid1(VALU_DEP_3)
	v_or_b32_e32 v14, 0x1000, v7
	v_lshrrev_b32_e32 v15, v11, v13
	s_delay_alu instid0(VALU_DEP_2) | instskip(NEXT) | instid1(VALU_DEP_2)
	v_lshrrev_b32_e32 v16, v9, v14
	v_lshlrev_b32_e32 v11, v11, v15
	s_delay_alu instid0(VALU_DEP_2) | instskip(NEXT) | instid1(VALU_DEP_2)
	v_lshlrev_b32_e32 v9, v9, v16
	v_cmp_ne_u32_e32 vcc_lo, v11, v13
	v_lshl_or_b32 v13, v10, 12, v5
	s_wait_alu 0xfffd
	v_cndmask_b32_e64 v11, 0, 1, vcc_lo
	v_cmp_ne_u32_e32 vcc_lo, v9, v14
	v_lshl_or_b32 v14, v12, 12, v7
	s_delay_alu instid0(VALU_DEP_3) | instskip(SKIP_3) | instid1(VALU_DEP_2)
	v_or_b32_e32 v11, v15, v11
	s_wait_alu 0xfffd
	v_cndmask_b32_e64 v9, 0, 1, vcc_lo
	v_cmp_gt_i32_e32 vcc_lo, 1, v10
	v_or_b32_e32 v9, v16, v9
	s_wait_alu 0xfffd
	v_cndmask_b32_e32 v11, v13, v11, vcc_lo
	v_cmp_gt_i32_e32 vcc_lo, 1, v12
	s_delay_alu instid0(VALU_DEP_2)
	v_and_b32_e32 v13, 7, v11
	s_wait_alu 0xfffd
	v_cndmask_b32_e32 v9, v14, v9, vcc_lo
	v_cmp_ne_u32_e32 vcc_lo, 0, v5
	v_lshrrev_b32_e32 v11, 2, v11
	v_cmp_eq_u32_e64 s0, 3, v13
	s_delay_alu instid0(VALU_DEP_4)
	v_and_b32_e32 v14, 7, v9
	s_wait_alu 0xfffd
	v_cndmask_b32_e64 v5, 0, 1, vcc_lo
	v_cmp_ne_u32_e32 vcc_lo, 0, v7
	v_lshrrev_b32_e32 v9, 2, v9
	v_cmp_lt_i32_e64 s1, 5, v14
	v_cmp_eq_u32_e64 s2, 3, v14
	s_wait_alu 0xfffd
	v_cndmask_b32_e64 v7, 0, 1, vcc_lo
	v_cmp_lt_i32_e32 vcc_lo, 5, v13
	v_lshl_or_b32 v5, v5, 9, 0x7c00
	s_delay_alu instid0(VALU_DEP_3)
	v_lshl_or_b32 v7, v7, 9, 0x7c00
	s_or_b32 vcc_lo, s0, vcc_lo
	s_wait_alu 0xfffe
	v_add_co_ci_u32_e32 v11, vcc_lo, 0, v11, vcc_lo
	s_or_b32 vcc_lo, s2, s1
	s_wait_alu 0xfffe
	v_add_co_ci_u32_e32 v9, vcc_lo, 0, v9, vcc_lo
	v_cmp_gt_i32_e32 vcc_lo, 31, v10
	s_wait_alu 0xfffd
	v_cndmask_b32_e32 v11, 0x7c00, v11, vcc_lo
	v_cmp_gt_i32_e32 vcc_lo, 31, v12
	s_wait_alu 0xfffd
	v_cndmask_b32_e32 v9, 0x7c00, v9, vcc_lo
	v_cmp_eq_u32_e32 vcc_lo, 0x40f, v10
	s_wait_alu 0xfffd
	v_cndmask_b32_e32 v5, v11, v5, vcc_lo
	v_cmp_eq_u32_e32 vcc_lo, 0x40f, v12
	s_delay_alu instid0(VALU_DEP_2)
	v_and_or_b32 v5, 0x8000, v6, v5
	s_wait_alu 0xfffd
	v_cndmask_b32_e32 v7, v9, v7, vcc_lo
	v_add_co_u32 v3, vcc_lo, v3, s6
	s_wait_alu 0xfffd
	v_add_co_ci_u32_e32 v4, vcc_lo, s7, v4, vcc_lo
	s_delay_alu instid0(VALU_DEP_3) | instskip(SKIP_1) | instid1(VALU_DEP_1)
	v_and_or_b32 v6, 0x8000, v8, v7
	v_and_b32_e32 v5, 0xffff, v5
	v_lshl_or_b32 v5, v6, 16, v5
	global_store_b32 v[3:4], v5, off
	global_load_b32 v7, v36, s[12:13] offset:420
	ds_load_2addr_b32 v[5:6], v2 offset0:105 offset1:120
	s_wait_dscnt 0x0
	v_lshrrev_b32_e32 v8, 16, v5
	s_wait_loadcnt 0x0
	v_lshrrev_b32_e32 v9, 16, v7
	s_delay_alu instid0(VALU_DEP_1) | instskip(SKIP_1) | instid1(VALU_DEP_2)
	v_mul_f16_e32 v10, v8, v9
	v_mul_f16_e32 v9, v5, v9
	v_fmac_f16_e32 v10, v5, v7
	s_delay_alu instid0(VALU_DEP_2) | instskip(NEXT) | instid1(VALU_DEP_2)
	v_fma_f16 v5, v7, v8, -v9
	v_cvt_f32_f16_e32 v7, v10
	s_delay_alu instid0(VALU_DEP_2) | instskip(NEXT) | instid1(VALU_DEP_2)
	v_cvt_f32_f16_e32 v5, v5
	v_cvt_f64_f32_e32 v[7:8], v7
	s_delay_alu instid0(VALU_DEP_2) | instskip(NEXT) | instid1(VALU_DEP_2)
	v_cvt_f64_f32_e32 v[9:10], v5
	v_mul_f64_e32 v[7:8], s[8:9], v[7:8]
	s_delay_alu instid0(VALU_DEP_2) | instskip(NEXT) | instid1(VALU_DEP_2)
	v_mul_f64_e32 v[9:10], s[8:9], v[9:10]
	v_and_or_b32 v5, 0x1ff, v8, v7
	s_delay_alu instid0(VALU_DEP_2)
	v_and_or_b32 v9, 0x1ff, v10, v9
	v_lshrrev_b32_e32 v7, 8, v8
	v_bfe_u32 v11, v8, 20, 11
	v_lshrrev_b32_e32 v12, 8, v10
	v_cmp_ne_u32_e32 vcc_lo, 0, v5
	v_bfe_u32 v13, v10, 20, 11
	v_lshrrev_b32_e32 v8, 16, v8
	v_sub_nc_u32_e32 v14, 0x3f1, v11
	v_add_nc_u32_e32 v11, 0xfffffc10, v11
	s_wait_alu 0xfffd
	v_cndmask_b32_e64 v5, 0, 1, vcc_lo
	v_cmp_ne_u32_e32 vcc_lo, 0, v9
	v_lshrrev_b32_e32 v10, 16, v10
	s_delay_alu instid0(VALU_DEP_3) | instskip(SKIP_4) | instid1(VALU_DEP_3)
	v_and_or_b32 v5, 0xffe, v7, v5
	s_wait_alu 0xfffd
	v_cndmask_b32_e64 v9, 0, 1, vcc_lo
	v_sub_nc_u32_e32 v7, 0x3f1, v13
	v_add_nc_u32_e32 v13, 0xfffffc10, v13
	v_and_or_b32 v9, 0xffe, v12, v9
	v_med3_i32 v12, v14, 0, 13
	v_or_b32_e32 v14, 0x1000, v5
	v_med3_i32 v7, v7, 0, 13
	s_delay_alu instid0(VALU_DEP_4) | instskip(NEXT) | instid1(VALU_DEP_3)
	v_or_b32_e32 v15, 0x1000, v9
	v_lshrrev_b32_e32 v16, v12, v14
	s_delay_alu instid0(VALU_DEP_2) | instskip(NEXT) | instid1(VALU_DEP_2)
	v_lshrrev_b32_e32 v17, v7, v15
	v_lshlrev_b32_e32 v12, v12, v16
	s_delay_alu instid0(VALU_DEP_2) | instskip(NEXT) | instid1(VALU_DEP_2)
	v_lshlrev_b32_e32 v7, v7, v17
	v_cmp_ne_u32_e32 vcc_lo, v12, v14
	v_lshl_or_b32 v14, v11, 12, v5
	s_wait_alu 0xfffd
	v_cndmask_b32_e64 v12, 0, 1, vcc_lo
	v_cmp_ne_u32_e32 vcc_lo, v7, v15
	v_lshl_or_b32 v15, v13, 12, v9
	s_delay_alu instid0(VALU_DEP_3) | instskip(SKIP_3) | instid1(VALU_DEP_2)
	v_or_b32_e32 v12, v16, v12
	s_wait_alu 0xfffd
	v_cndmask_b32_e64 v7, 0, 1, vcc_lo
	v_cmp_gt_i32_e32 vcc_lo, 1, v11
	v_or_b32_e32 v7, v17, v7
	s_wait_alu 0xfffd
	v_cndmask_b32_e32 v12, v14, v12, vcc_lo
	v_cmp_gt_i32_e32 vcc_lo, 1, v13
	s_wait_alu 0xfffd
	s_delay_alu instid0(VALU_DEP_2) | instskip(SKIP_2) | instid1(VALU_DEP_3)
	v_dual_cndmask_b32 v7, v15, v7 :: v_dual_and_b32 v14, 7, v12
	v_cmp_ne_u32_e32 vcc_lo, 0, v5
	v_lshrrev_b32_e32 v12, 2, v12
	v_cmp_eq_u32_e64 s0, 3, v14
	s_delay_alu instid0(VALU_DEP_4)
	v_and_b32_e32 v15, 7, v7
	s_wait_alu 0xfffd
	v_cndmask_b32_e64 v5, 0, 1, vcc_lo
	v_cmp_ne_u32_e32 vcc_lo, 0, v9
	v_lshrrev_b32_e32 v7, 2, v7
	v_cmp_lt_i32_e64 s1, 5, v15
	v_cmp_eq_u32_e64 s2, 3, v15
	s_wait_alu 0xfffd
	v_cndmask_b32_e64 v9, 0, 1, vcc_lo
	v_cmp_lt_i32_e32 vcc_lo, 5, v14
	v_lshl_or_b32 v5, v5, 9, 0x7c00
	s_delay_alu instid0(VALU_DEP_3)
	v_lshl_or_b32 v9, v9, 9, 0x7c00
	s_or_b32 vcc_lo, s0, vcc_lo
	s_wait_alu 0xfffe
	v_add_co_ci_u32_e32 v12, vcc_lo, 0, v12, vcc_lo
	s_or_b32 vcc_lo, s2, s1
	s_wait_alu 0xfffe
	v_add_co_ci_u32_e32 v7, vcc_lo, 0, v7, vcc_lo
	v_cmp_gt_i32_e32 vcc_lo, 31, v11
	s_wait_alu 0xfffd
	v_cndmask_b32_e32 v12, 0x7c00, v12, vcc_lo
	v_cmp_gt_i32_e32 vcc_lo, 31, v13
	s_wait_alu 0xfffd
	v_cndmask_b32_e32 v7, 0x7c00, v7, vcc_lo
	v_cmp_eq_u32_e32 vcc_lo, 0x40f, v11
	s_wait_alu 0xfffd
	v_cndmask_b32_e32 v5, v12, v5, vcc_lo
	v_cmp_eq_u32_e32 vcc_lo, 0x40f, v13
	s_delay_alu instid0(VALU_DEP_2)
	v_and_or_b32 v5, 0x8000, v8, v5
	s_wait_alu 0xfffd
	v_cndmask_b32_e32 v7, v7, v9, vcc_lo
	v_add_co_u32 v3, vcc_lo, v3, s6
	s_wait_alu 0xfffd
	v_add_co_ci_u32_e32 v4, vcc_lo, s7, v4, vcc_lo
	s_delay_alu instid0(VALU_DEP_3) | instskip(SKIP_1) | instid1(VALU_DEP_1)
	v_and_or_b32 v7, 0x8000, v10, v7
	v_and_b32_e32 v5, 0xffff, v5
	v_lshl_or_b32 v5, v7, 16, v5
	v_lshrrev_b32_e32 v7, 16, v6
	global_store_b32 v[3:4], v5, off
	global_load_b32 v5, v36, s[12:13] offset:480
	s_wait_loadcnt 0x0
	v_lshrrev_b32_e32 v8, 16, v5
	s_delay_alu instid0(VALU_DEP_1) | instskip(SKIP_1) | instid1(VALU_DEP_2)
	v_mul_f16_e32 v9, v7, v8
	v_mul_f16_e32 v8, v6, v8
	v_fmac_f16_e32 v9, v6, v5
	s_delay_alu instid0(VALU_DEP_2) | instskip(NEXT) | instid1(VALU_DEP_2)
	v_fma_f16 v5, v5, v7, -v8
	v_cvt_f32_f16_e32 v6, v9
	s_delay_alu instid0(VALU_DEP_2) | instskip(NEXT) | instid1(VALU_DEP_2)
	v_cvt_f32_f16_e32 v7, v5
	v_cvt_f64_f32_e32 v[5:6], v6
	s_delay_alu instid0(VALU_DEP_2) | instskip(NEXT) | instid1(VALU_DEP_2)
	v_cvt_f64_f32_e32 v[7:8], v7
	v_mul_f64_e32 v[5:6], s[8:9], v[5:6]
	s_delay_alu instid0(VALU_DEP_2) | instskip(NEXT) | instid1(VALU_DEP_2)
	v_mul_f64_e32 v[7:8], s[8:9], v[7:8]
	v_and_or_b32 v5, 0x1ff, v6, v5
	s_delay_alu instid0(VALU_DEP_2)
	v_and_or_b32 v7, 0x1ff, v8, v7
	v_lshrrev_b32_e32 v9, 8, v6
	v_bfe_u32 v10, v6, 20, 11
	v_lshrrev_b32_e32 v11, 8, v8
	v_cmp_ne_u32_e32 vcc_lo, 0, v5
	v_bfe_u32 v12, v8, 20, 11
	v_lshrrev_b32_e32 v6, 16, v6
	v_sub_nc_u32_e32 v13, 0x3f1, v10
	v_add_nc_u32_e32 v10, 0xfffffc10, v10
	s_wait_alu 0xfffd
	v_cndmask_b32_e64 v5, 0, 1, vcc_lo
	v_cmp_ne_u32_e32 vcc_lo, 0, v7
	v_lshrrev_b32_e32 v8, 16, v8
	s_delay_alu instid0(VALU_DEP_3) | instskip(SKIP_4) | instid1(VALU_DEP_3)
	v_and_or_b32 v5, 0xffe, v9, v5
	s_wait_alu 0xfffd
	v_cndmask_b32_e64 v7, 0, 1, vcc_lo
	v_sub_nc_u32_e32 v9, 0x3f1, v12
	v_add_nc_u32_e32 v12, 0xfffffc10, v12
	v_and_or_b32 v7, 0xffe, v11, v7
	v_med3_i32 v11, v13, 0, 13
	v_or_b32_e32 v13, 0x1000, v5
	v_med3_i32 v9, v9, 0, 13
	s_delay_alu instid0(VALU_DEP_4) | instskip(NEXT) | instid1(VALU_DEP_3)
	v_or_b32_e32 v14, 0x1000, v7
	v_lshrrev_b32_e32 v15, v11, v13
	s_delay_alu instid0(VALU_DEP_2) | instskip(NEXT) | instid1(VALU_DEP_2)
	v_lshrrev_b32_e32 v16, v9, v14
	v_lshlrev_b32_e32 v11, v11, v15
	s_delay_alu instid0(VALU_DEP_2) | instskip(NEXT) | instid1(VALU_DEP_2)
	v_lshlrev_b32_e32 v9, v9, v16
	v_cmp_ne_u32_e32 vcc_lo, v11, v13
	v_lshl_or_b32 v13, v10, 12, v5
	s_wait_alu 0xfffd
	v_cndmask_b32_e64 v11, 0, 1, vcc_lo
	v_cmp_ne_u32_e32 vcc_lo, v9, v14
	v_lshl_or_b32 v14, v12, 12, v7
	s_delay_alu instid0(VALU_DEP_3) | instskip(SKIP_3) | instid1(VALU_DEP_2)
	v_or_b32_e32 v11, v15, v11
	s_wait_alu 0xfffd
	v_cndmask_b32_e64 v9, 0, 1, vcc_lo
	v_cmp_gt_i32_e32 vcc_lo, 1, v10
	v_or_b32_e32 v9, v16, v9
	s_wait_alu 0xfffd
	v_cndmask_b32_e32 v11, v13, v11, vcc_lo
	v_cmp_gt_i32_e32 vcc_lo, 1, v12
	s_delay_alu instid0(VALU_DEP_2)
	v_and_b32_e32 v13, 7, v11
	s_wait_alu 0xfffd
	v_cndmask_b32_e32 v9, v14, v9, vcc_lo
	v_cmp_ne_u32_e32 vcc_lo, 0, v5
	v_lshrrev_b32_e32 v11, 2, v11
	v_cmp_eq_u32_e64 s0, 3, v13
	s_delay_alu instid0(VALU_DEP_4)
	v_and_b32_e32 v14, 7, v9
	s_wait_alu 0xfffd
	v_cndmask_b32_e64 v5, 0, 1, vcc_lo
	v_cmp_ne_u32_e32 vcc_lo, 0, v7
	v_lshrrev_b32_e32 v9, 2, v9
	v_cmp_lt_i32_e64 s1, 5, v14
	v_cmp_eq_u32_e64 s2, 3, v14
	s_wait_alu 0xfffd
	v_cndmask_b32_e64 v7, 0, 1, vcc_lo
	v_cmp_lt_i32_e32 vcc_lo, 5, v13
	v_lshl_or_b32 v5, v5, 9, 0x7c00
	s_delay_alu instid0(VALU_DEP_3)
	v_lshl_or_b32 v7, v7, 9, 0x7c00
	s_or_b32 vcc_lo, s0, vcc_lo
	s_wait_alu 0xfffe
	v_add_co_ci_u32_e32 v11, vcc_lo, 0, v11, vcc_lo
	s_or_b32 vcc_lo, s2, s1
	s_wait_alu 0xfffe
	v_add_co_ci_u32_e32 v9, vcc_lo, 0, v9, vcc_lo
	v_cmp_gt_i32_e32 vcc_lo, 31, v10
	s_wait_alu 0xfffd
	v_cndmask_b32_e32 v11, 0x7c00, v11, vcc_lo
	v_cmp_gt_i32_e32 vcc_lo, 31, v12
	s_wait_alu 0xfffd
	v_cndmask_b32_e32 v9, 0x7c00, v9, vcc_lo
	v_cmp_eq_u32_e32 vcc_lo, 0x40f, v10
	s_wait_alu 0xfffd
	v_cndmask_b32_e32 v5, v11, v5, vcc_lo
	v_cmp_eq_u32_e32 vcc_lo, 0x40f, v12
	s_delay_alu instid0(VALU_DEP_2)
	v_and_or_b32 v5, 0x8000, v6, v5
	s_wait_alu 0xfffd
	v_cndmask_b32_e32 v7, v9, v7, vcc_lo
	v_add_co_u32 v3, vcc_lo, v3, s6
	s_wait_alu 0xfffd
	v_add_co_ci_u32_e32 v4, vcc_lo, s7, v4, vcc_lo
	s_delay_alu instid0(VALU_DEP_3) | instskip(SKIP_1) | instid1(VALU_DEP_1)
	v_and_or_b32 v6, 0x8000, v8, v7
	v_and_b32_e32 v5, 0xffff, v5
	v_lshl_or_b32 v5, v6, 16, v5
	global_store_b32 v[3:4], v5, off
	global_load_b32 v7, v36, s[12:13] offset:540
	ds_load_2addr_b32 v[5:6], v2 offset0:135 offset1:150
	s_wait_dscnt 0x0
	v_lshrrev_b32_e32 v8, 16, v5
	s_wait_loadcnt 0x0
	v_lshrrev_b32_e32 v9, 16, v7
	s_delay_alu instid0(VALU_DEP_1) | instskip(SKIP_1) | instid1(VALU_DEP_2)
	v_mul_f16_e32 v10, v8, v9
	v_mul_f16_e32 v9, v5, v9
	v_fmac_f16_e32 v10, v5, v7
	s_delay_alu instid0(VALU_DEP_2) | instskip(NEXT) | instid1(VALU_DEP_2)
	v_fma_f16 v5, v7, v8, -v9
	v_cvt_f32_f16_e32 v7, v10
	s_delay_alu instid0(VALU_DEP_2) | instskip(NEXT) | instid1(VALU_DEP_2)
	v_cvt_f32_f16_e32 v5, v5
	v_cvt_f64_f32_e32 v[7:8], v7
	s_delay_alu instid0(VALU_DEP_2) | instskip(NEXT) | instid1(VALU_DEP_2)
	v_cvt_f64_f32_e32 v[9:10], v5
	v_mul_f64_e32 v[7:8], s[8:9], v[7:8]
	s_delay_alu instid0(VALU_DEP_2) | instskip(NEXT) | instid1(VALU_DEP_2)
	v_mul_f64_e32 v[9:10], s[8:9], v[9:10]
	v_and_or_b32 v5, 0x1ff, v8, v7
	s_delay_alu instid0(VALU_DEP_2)
	v_and_or_b32 v9, 0x1ff, v10, v9
	v_lshrrev_b32_e32 v7, 8, v8
	v_bfe_u32 v11, v8, 20, 11
	v_lshrrev_b32_e32 v12, 8, v10
	v_cmp_ne_u32_e32 vcc_lo, 0, v5
	v_bfe_u32 v13, v10, 20, 11
	v_lshrrev_b32_e32 v8, 16, v8
	v_sub_nc_u32_e32 v14, 0x3f1, v11
	v_add_nc_u32_e32 v11, 0xfffffc10, v11
	s_wait_alu 0xfffd
	v_cndmask_b32_e64 v5, 0, 1, vcc_lo
	v_cmp_ne_u32_e32 vcc_lo, 0, v9
	v_lshrrev_b32_e32 v10, 16, v10
	s_delay_alu instid0(VALU_DEP_3) | instskip(SKIP_4) | instid1(VALU_DEP_3)
	v_and_or_b32 v5, 0xffe, v7, v5
	s_wait_alu 0xfffd
	v_cndmask_b32_e64 v9, 0, 1, vcc_lo
	v_sub_nc_u32_e32 v7, 0x3f1, v13
	v_add_nc_u32_e32 v13, 0xfffffc10, v13
	v_and_or_b32 v9, 0xffe, v12, v9
	v_med3_i32 v12, v14, 0, 13
	v_or_b32_e32 v14, 0x1000, v5
	v_med3_i32 v7, v7, 0, 13
	s_delay_alu instid0(VALU_DEP_4) | instskip(NEXT) | instid1(VALU_DEP_3)
	v_or_b32_e32 v15, 0x1000, v9
	v_lshrrev_b32_e32 v16, v12, v14
	s_delay_alu instid0(VALU_DEP_2) | instskip(NEXT) | instid1(VALU_DEP_2)
	v_lshrrev_b32_e32 v17, v7, v15
	v_lshlrev_b32_e32 v12, v12, v16
	s_delay_alu instid0(VALU_DEP_2) | instskip(NEXT) | instid1(VALU_DEP_2)
	v_lshlrev_b32_e32 v7, v7, v17
	v_cmp_ne_u32_e32 vcc_lo, v12, v14
	v_lshl_or_b32 v14, v11, 12, v5
	s_wait_alu 0xfffd
	v_cndmask_b32_e64 v12, 0, 1, vcc_lo
	v_cmp_ne_u32_e32 vcc_lo, v7, v15
	v_lshl_or_b32 v15, v13, 12, v9
	s_delay_alu instid0(VALU_DEP_3) | instskip(SKIP_3) | instid1(VALU_DEP_2)
	v_or_b32_e32 v12, v16, v12
	s_wait_alu 0xfffd
	v_cndmask_b32_e64 v7, 0, 1, vcc_lo
	v_cmp_gt_i32_e32 vcc_lo, 1, v11
	v_or_b32_e32 v7, v17, v7
	s_wait_alu 0xfffd
	v_cndmask_b32_e32 v12, v14, v12, vcc_lo
	v_cmp_gt_i32_e32 vcc_lo, 1, v13
	s_wait_alu 0xfffd
	s_delay_alu instid0(VALU_DEP_2) | instskip(SKIP_2) | instid1(VALU_DEP_3)
	v_dual_cndmask_b32 v7, v15, v7 :: v_dual_and_b32 v14, 7, v12
	v_cmp_ne_u32_e32 vcc_lo, 0, v5
	v_lshrrev_b32_e32 v12, 2, v12
	v_cmp_eq_u32_e64 s0, 3, v14
	s_delay_alu instid0(VALU_DEP_4)
	v_and_b32_e32 v15, 7, v7
	s_wait_alu 0xfffd
	v_cndmask_b32_e64 v5, 0, 1, vcc_lo
	v_cmp_ne_u32_e32 vcc_lo, 0, v9
	v_lshrrev_b32_e32 v7, 2, v7
	v_cmp_lt_i32_e64 s1, 5, v15
	v_cmp_eq_u32_e64 s2, 3, v15
	s_wait_alu 0xfffd
	v_cndmask_b32_e64 v9, 0, 1, vcc_lo
	v_cmp_lt_i32_e32 vcc_lo, 5, v14
	v_lshl_or_b32 v5, v5, 9, 0x7c00
	s_delay_alu instid0(VALU_DEP_3)
	v_lshl_or_b32 v9, v9, 9, 0x7c00
	s_or_b32 vcc_lo, s0, vcc_lo
	s_wait_alu 0xfffe
	v_add_co_ci_u32_e32 v12, vcc_lo, 0, v12, vcc_lo
	s_or_b32 vcc_lo, s2, s1
	s_wait_alu 0xfffe
	v_add_co_ci_u32_e32 v7, vcc_lo, 0, v7, vcc_lo
	v_cmp_gt_i32_e32 vcc_lo, 31, v11
	s_wait_alu 0xfffd
	v_cndmask_b32_e32 v12, 0x7c00, v12, vcc_lo
	v_cmp_gt_i32_e32 vcc_lo, 31, v13
	s_wait_alu 0xfffd
	v_cndmask_b32_e32 v7, 0x7c00, v7, vcc_lo
	v_cmp_eq_u32_e32 vcc_lo, 0x40f, v11
	s_wait_alu 0xfffd
	v_cndmask_b32_e32 v5, v12, v5, vcc_lo
	v_cmp_eq_u32_e32 vcc_lo, 0x40f, v13
	s_delay_alu instid0(VALU_DEP_2)
	v_and_or_b32 v5, 0x8000, v8, v5
	s_wait_alu 0xfffd
	v_cndmask_b32_e32 v7, v7, v9, vcc_lo
	v_add_co_u32 v3, vcc_lo, v3, s6
	s_wait_alu 0xfffd
	v_add_co_ci_u32_e32 v4, vcc_lo, s7, v4, vcc_lo
	s_delay_alu instid0(VALU_DEP_3) | instskip(SKIP_1) | instid1(VALU_DEP_1)
	v_and_or_b32 v7, 0x8000, v10, v7
	v_and_b32_e32 v5, 0xffff, v5
	v_lshl_or_b32 v5, v7, 16, v5
	v_lshrrev_b32_e32 v7, 16, v6
	global_store_b32 v[3:4], v5, off
	global_load_b32 v5, v36, s[12:13] offset:600
	s_wait_loadcnt 0x0
	v_lshrrev_b32_e32 v8, 16, v5
	s_delay_alu instid0(VALU_DEP_1) | instskip(SKIP_1) | instid1(VALU_DEP_2)
	v_mul_f16_e32 v9, v7, v8
	v_mul_f16_e32 v8, v6, v8
	v_fmac_f16_e32 v9, v6, v5
	s_delay_alu instid0(VALU_DEP_2) | instskip(NEXT) | instid1(VALU_DEP_2)
	v_fma_f16 v5, v5, v7, -v8
	v_cvt_f32_f16_e32 v6, v9
	s_delay_alu instid0(VALU_DEP_2) | instskip(NEXT) | instid1(VALU_DEP_2)
	v_cvt_f32_f16_e32 v7, v5
	v_cvt_f64_f32_e32 v[5:6], v6
	s_delay_alu instid0(VALU_DEP_2) | instskip(NEXT) | instid1(VALU_DEP_2)
	v_cvt_f64_f32_e32 v[7:8], v7
	v_mul_f64_e32 v[5:6], s[8:9], v[5:6]
	s_delay_alu instid0(VALU_DEP_2) | instskip(NEXT) | instid1(VALU_DEP_2)
	v_mul_f64_e32 v[7:8], s[8:9], v[7:8]
	v_and_or_b32 v5, 0x1ff, v6, v5
	s_delay_alu instid0(VALU_DEP_2)
	v_and_or_b32 v7, 0x1ff, v8, v7
	v_lshrrev_b32_e32 v9, 8, v6
	v_bfe_u32 v10, v6, 20, 11
	v_lshrrev_b32_e32 v11, 8, v8
	v_cmp_ne_u32_e32 vcc_lo, 0, v5
	v_bfe_u32 v12, v8, 20, 11
	v_lshrrev_b32_e32 v6, 16, v6
	v_sub_nc_u32_e32 v13, 0x3f1, v10
	v_add_nc_u32_e32 v10, 0xfffffc10, v10
	s_wait_alu 0xfffd
	v_cndmask_b32_e64 v5, 0, 1, vcc_lo
	v_cmp_ne_u32_e32 vcc_lo, 0, v7
	v_lshrrev_b32_e32 v8, 16, v8
	s_delay_alu instid0(VALU_DEP_3) | instskip(SKIP_4) | instid1(VALU_DEP_3)
	v_and_or_b32 v5, 0xffe, v9, v5
	s_wait_alu 0xfffd
	v_cndmask_b32_e64 v7, 0, 1, vcc_lo
	v_sub_nc_u32_e32 v9, 0x3f1, v12
	v_add_nc_u32_e32 v12, 0xfffffc10, v12
	v_and_or_b32 v7, 0xffe, v11, v7
	v_med3_i32 v11, v13, 0, 13
	v_or_b32_e32 v13, 0x1000, v5
	v_med3_i32 v9, v9, 0, 13
	s_delay_alu instid0(VALU_DEP_4) | instskip(NEXT) | instid1(VALU_DEP_3)
	v_or_b32_e32 v14, 0x1000, v7
	v_lshrrev_b32_e32 v15, v11, v13
	s_delay_alu instid0(VALU_DEP_2) | instskip(NEXT) | instid1(VALU_DEP_2)
	v_lshrrev_b32_e32 v16, v9, v14
	v_lshlrev_b32_e32 v11, v11, v15
	s_delay_alu instid0(VALU_DEP_2) | instskip(NEXT) | instid1(VALU_DEP_2)
	v_lshlrev_b32_e32 v9, v9, v16
	v_cmp_ne_u32_e32 vcc_lo, v11, v13
	v_lshl_or_b32 v13, v10, 12, v5
	s_wait_alu 0xfffd
	v_cndmask_b32_e64 v11, 0, 1, vcc_lo
	v_cmp_ne_u32_e32 vcc_lo, v9, v14
	v_lshl_or_b32 v14, v12, 12, v7
	s_delay_alu instid0(VALU_DEP_3) | instskip(SKIP_3) | instid1(VALU_DEP_2)
	v_or_b32_e32 v11, v15, v11
	s_wait_alu 0xfffd
	v_cndmask_b32_e64 v9, 0, 1, vcc_lo
	v_cmp_gt_i32_e32 vcc_lo, 1, v10
	v_or_b32_e32 v9, v16, v9
	s_wait_alu 0xfffd
	v_cndmask_b32_e32 v11, v13, v11, vcc_lo
	v_cmp_gt_i32_e32 vcc_lo, 1, v12
	s_delay_alu instid0(VALU_DEP_2)
	v_and_b32_e32 v13, 7, v11
	s_wait_alu 0xfffd
	v_cndmask_b32_e32 v9, v14, v9, vcc_lo
	v_cmp_ne_u32_e32 vcc_lo, 0, v5
	v_lshrrev_b32_e32 v11, 2, v11
	v_cmp_eq_u32_e64 s0, 3, v13
	s_delay_alu instid0(VALU_DEP_4)
	v_and_b32_e32 v14, 7, v9
	s_wait_alu 0xfffd
	v_cndmask_b32_e64 v5, 0, 1, vcc_lo
	v_cmp_ne_u32_e32 vcc_lo, 0, v7
	v_lshrrev_b32_e32 v9, 2, v9
	v_cmp_lt_i32_e64 s1, 5, v14
	v_cmp_eq_u32_e64 s2, 3, v14
	s_wait_alu 0xfffd
	v_cndmask_b32_e64 v7, 0, 1, vcc_lo
	v_cmp_lt_i32_e32 vcc_lo, 5, v13
	v_lshl_or_b32 v5, v5, 9, 0x7c00
	s_delay_alu instid0(VALU_DEP_3)
	v_lshl_or_b32 v7, v7, 9, 0x7c00
	s_or_b32 vcc_lo, s0, vcc_lo
	s_wait_alu 0xfffe
	v_add_co_ci_u32_e32 v11, vcc_lo, 0, v11, vcc_lo
	s_or_b32 vcc_lo, s2, s1
	s_wait_alu 0xfffe
	v_add_co_ci_u32_e32 v9, vcc_lo, 0, v9, vcc_lo
	v_cmp_gt_i32_e32 vcc_lo, 31, v10
	s_wait_alu 0xfffd
	v_cndmask_b32_e32 v11, 0x7c00, v11, vcc_lo
	v_cmp_gt_i32_e32 vcc_lo, 31, v12
	s_wait_alu 0xfffd
	v_cndmask_b32_e32 v9, 0x7c00, v9, vcc_lo
	v_cmp_eq_u32_e32 vcc_lo, 0x40f, v10
	s_wait_alu 0xfffd
	v_cndmask_b32_e32 v5, v11, v5, vcc_lo
	v_cmp_eq_u32_e32 vcc_lo, 0x40f, v12
	s_delay_alu instid0(VALU_DEP_2)
	v_and_or_b32 v5, 0x8000, v6, v5
	s_wait_alu 0xfffd
	v_cndmask_b32_e32 v7, v9, v7, vcc_lo
	v_add_co_u32 v3, vcc_lo, v3, s6
	s_wait_alu 0xfffd
	v_add_co_ci_u32_e32 v4, vcc_lo, s7, v4, vcc_lo
	s_delay_alu instid0(VALU_DEP_3) | instskip(SKIP_1) | instid1(VALU_DEP_1)
	v_and_or_b32 v6, 0x8000, v8, v7
	v_and_b32_e32 v5, 0xffff, v5
	v_lshl_or_b32 v5, v6, 16, v5
	global_store_b32 v[3:4], v5, off
	global_load_b32 v7, v36, s[12:13] offset:660
	ds_load_2addr_b32 v[5:6], v2 offset0:165 offset1:180
	s_wait_dscnt 0x0
	v_lshrrev_b32_e32 v8, 16, v5
	s_wait_loadcnt 0x0
	v_lshrrev_b32_e32 v9, 16, v7
	s_delay_alu instid0(VALU_DEP_1) | instskip(SKIP_1) | instid1(VALU_DEP_2)
	v_mul_f16_e32 v10, v8, v9
	v_mul_f16_e32 v9, v5, v9
	v_fmac_f16_e32 v10, v5, v7
	s_delay_alu instid0(VALU_DEP_2) | instskip(NEXT) | instid1(VALU_DEP_2)
	v_fma_f16 v5, v7, v8, -v9
	v_cvt_f32_f16_e32 v7, v10
	s_delay_alu instid0(VALU_DEP_2) | instskip(NEXT) | instid1(VALU_DEP_2)
	v_cvt_f32_f16_e32 v5, v5
	v_cvt_f64_f32_e32 v[7:8], v7
	s_delay_alu instid0(VALU_DEP_2) | instskip(NEXT) | instid1(VALU_DEP_2)
	v_cvt_f64_f32_e32 v[9:10], v5
	v_mul_f64_e32 v[7:8], s[8:9], v[7:8]
	s_delay_alu instid0(VALU_DEP_2) | instskip(NEXT) | instid1(VALU_DEP_2)
	v_mul_f64_e32 v[9:10], s[8:9], v[9:10]
	v_and_or_b32 v5, 0x1ff, v8, v7
	s_delay_alu instid0(VALU_DEP_2)
	v_and_or_b32 v9, 0x1ff, v10, v9
	v_lshrrev_b32_e32 v7, 8, v8
	v_bfe_u32 v11, v8, 20, 11
	v_lshrrev_b32_e32 v12, 8, v10
	v_cmp_ne_u32_e32 vcc_lo, 0, v5
	v_bfe_u32 v13, v10, 20, 11
	v_lshrrev_b32_e32 v8, 16, v8
	v_sub_nc_u32_e32 v14, 0x3f1, v11
	v_add_nc_u32_e32 v11, 0xfffffc10, v11
	s_wait_alu 0xfffd
	v_cndmask_b32_e64 v5, 0, 1, vcc_lo
	v_cmp_ne_u32_e32 vcc_lo, 0, v9
	v_lshrrev_b32_e32 v10, 16, v10
	s_delay_alu instid0(VALU_DEP_3) | instskip(SKIP_4) | instid1(VALU_DEP_3)
	v_and_or_b32 v5, 0xffe, v7, v5
	s_wait_alu 0xfffd
	v_cndmask_b32_e64 v9, 0, 1, vcc_lo
	v_sub_nc_u32_e32 v7, 0x3f1, v13
	v_add_nc_u32_e32 v13, 0xfffffc10, v13
	v_and_or_b32 v9, 0xffe, v12, v9
	v_med3_i32 v12, v14, 0, 13
	v_or_b32_e32 v14, 0x1000, v5
	v_med3_i32 v7, v7, 0, 13
	s_delay_alu instid0(VALU_DEP_4) | instskip(NEXT) | instid1(VALU_DEP_3)
	v_or_b32_e32 v15, 0x1000, v9
	v_lshrrev_b32_e32 v16, v12, v14
	s_delay_alu instid0(VALU_DEP_2) | instskip(NEXT) | instid1(VALU_DEP_2)
	v_lshrrev_b32_e32 v17, v7, v15
	v_lshlrev_b32_e32 v12, v12, v16
	s_delay_alu instid0(VALU_DEP_2) | instskip(NEXT) | instid1(VALU_DEP_2)
	v_lshlrev_b32_e32 v7, v7, v17
	v_cmp_ne_u32_e32 vcc_lo, v12, v14
	v_lshl_or_b32 v14, v11, 12, v5
	s_wait_alu 0xfffd
	v_cndmask_b32_e64 v12, 0, 1, vcc_lo
	v_cmp_ne_u32_e32 vcc_lo, v7, v15
	v_lshl_or_b32 v15, v13, 12, v9
	s_delay_alu instid0(VALU_DEP_3) | instskip(SKIP_3) | instid1(VALU_DEP_2)
	v_or_b32_e32 v12, v16, v12
	s_wait_alu 0xfffd
	v_cndmask_b32_e64 v7, 0, 1, vcc_lo
	v_cmp_gt_i32_e32 vcc_lo, 1, v11
	v_or_b32_e32 v7, v17, v7
	s_wait_alu 0xfffd
	v_cndmask_b32_e32 v12, v14, v12, vcc_lo
	v_cmp_gt_i32_e32 vcc_lo, 1, v13
	s_wait_alu 0xfffd
	s_delay_alu instid0(VALU_DEP_2) | instskip(SKIP_2) | instid1(VALU_DEP_3)
	v_dual_cndmask_b32 v7, v15, v7 :: v_dual_and_b32 v14, 7, v12
	v_cmp_ne_u32_e32 vcc_lo, 0, v5
	v_lshrrev_b32_e32 v12, 2, v12
	v_cmp_eq_u32_e64 s0, 3, v14
	s_delay_alu instid0(VALU_DEP_4)
	v_and_b32_e32 v15, 7, v7
	s_wait_alu 0xfffd
	v_cndmask_b32_e64 v5, 0, 1, vcc_lo
	v_cmp_ne_u32_e32 vcc_lo, 0, v9
	v_lshrrev_b32_e32 v7, 2, v7
	v_cmp_lt_i32_e64 s1, 5, v15
	v_cmp_eq_u32_e64 s2, 3, v15
	s_wait_alu 0xfffd
	v_cndmask_b32_e64 v9, 0, 1, vcc_lo
	v_cmp_lt_i32_e32 vcc_lo, 5, v14
	v_lshl_or_b32 v5, v5, 9, 0x7c00
	s_delay_alu instid0(VALU_DEP_3)
	v_lshl_or_b32 v9, v9, 9, 0x7c00
	s_or_b32 vcc_lo, s0, vcc_lo
	s_wait_alu 0xfffe
	v_add_co_ci_u32_e32 v12, vcc_lo, 0, v12, vcc_lo
	s_or_b32 vcc_lo, s2, s1
	s_wait_alu 0xfffe
	v_add_co_ci_u32_e32 v7, vcc_lo, 0, v7, vcc_lo
	v_cmp_gt_i32_e32 vcc_lo, 31, v11
	s_wait_alu 0xfffd
	v_cndmask_b32_e32 v12, 0x7c00, v12, vcc_lo
	v_cmp_gt_i32_e32 vcc_lo, 31, v13
	s_wait_alu 0xfffd
	v_cndmask_b32_e32 v7, 0x7c00, v7, vcc_lo
	v_cmp_eq_u32_e32 vcc_lo, 0x40f, v11
	s_wait_alu 0xfffd
	v_cndmask_b32_e32 v5, v12, v5, vcc_lo
	v_cmp_eq_u32_e32 vcc_lo, 0x40f, v13
	s_delay_alu instid0(VALU_DEP_2)
	v_and_or_b32 v5, 0x8000, v8, v5
	s_wait_alu 0xfffd
	v_cndmask_b32_e32 v7, v7, v9, vcc_lo
	v_add_co_u32 v3, vcc_lo, v3, s6
	s_wait_alu 0xfffd
	v_add_co_ci_u32_e32 v4, vcc_lo, s7, v4, vcc_lo
	s_delay_alu instid0(VALU_DEP_3) | instskip(SKIP_1) | instid1(VALU_DEP_1)
	v_and_or_b32 v7, 0x8000, v10, v7
	v_and_b32_e32 v5, 0xffff, v5
	v_lshl_or_b32 v5, v7, 16, v5
	v_lshrrev_b32_e32 v7, 16, v6
	global_store_b32 v[3:4], v5, off
	global_load_b32 v5, v36, s[12:13] offset:720
	s_wait_loadcnt 0x0
	v_lshrrev_b32_e32 v8, 16, v5
	s_delay_alu instid0(VALU_DEP_1) | instskip(SKIP_1) | instid1(VALU_DEP_2)
	v_mul_f16_e32 v9, v7, v8
	v_mul_f16_e32 v8, v6, v8
	v_fmac_f16_e32 v9, v6, v5
	s_delay_alu instid0(VALU_DEP_2) | instskip(NEXT) | instid1(VALU_DEP_2)
	v_fma_f16 v5, v5, v7, -v8
	v_cvt_f32_f16_e32 v6, v9
	s_delay_alu instid0(VALU_DEP_2) | instskip(NEXT) | instid1(VALU_DEP_2)
	v_cvt_f32_f16_e32 v7, v5
	v_cvt_f64_f32_e32 v[5:6], v6
	s_delay_alu instid0(VALU_DEP_2) | instskip(NEXT) | instid1(VALU_DEP_2)
	v_cvt_f64_f32_e32 v[7:8], v7
	v_mul_f64_e32 v[5:6], s[8:9], v[5:6]
	s_delay_alu instid0(VALU_DEP_2) | instskip(NEXT) | instid1(VALU_DEP_2)
	v_mul_f64_e32 v[7:8], s[8:9], v[7:8]
	v_and_or_b32 v5, 0x1ff, v6, v5
	s_delay_alu instid0(VALU_DEP_2)
	v_and_or_b32 v7, 0x1ff, v8, v7
	v_lshrrev_b32_e32 v9, 8, v6
	v_bfe_u32 v10, v6, 20, 11
	v_lshrrev_b32_e32 v11, 8, v8
	v_cmp_ne_u32_e32 vcc_lo, 0, v5
	v_bfe_u32 v12, v8, 20, 11
	v_lshrrev_b32_e32 v6, 16, v6
	v_sub_nc_u32_e32 v13, 0x3f1, v10
	v_add_nc_u32_e32 v10, 0xfffffc10, v10
	s_wait_alu 0xfffd
	v_cndmask_b32_e64 v5, 0, 1, vcc_lo
	v_cmp_ne_u32_e32 vcc_lo, 0, v7
	v_lshrrev_b32_e32 v8, 16, v8
	s_delay_alu instid0(VALU_DEP_3) | instskip(SKIP_4) | instid1(VALU_DEP_3)
	v_and_or_b32 v5, 0xffe, v9, v5
	s_wait_alu 0xfffd
	v_cndmask_b32_e64 v7, 0, 1, vcc_lo
	v_sub_nc_u32_e32 v9, 0x3f1, v12
	v_add_nc_u32_e32 v12, 0xfffffc10, v12
	v_and_or_b32 v7, 0xffe, v11, v7
	v_med3_i32 v11, v13, 0, 13
	v_or_b32_e32 v13, 0x1000, v5
	v_med3_i32 v9, v9, 0, 13
	s_delay_alu instid0(VALU_DEP_4) | instskip(NEXT) | instid1(VALU_DEP_3)
	v_or_b32_e32 v14, 0x1000, v7
	v_lshrrev_b32_e32 v15, v11, v13
	s_delay_alu instid0(VALU_DEP_2) | instskip(NEXT) | instid1(VALU_DEP_2)
	v_lshrrev_b32_e32 v16, v9, v14
	v_lshlrev_b32_e32 v11, v11, v15
	s_delay_alu instid0(VALU_DEP_2) | instskip(NEXT) | instid1(VALU_DEP_2)
	v_lshlrev_b32_e32 v9, v9, v16
	v_cmp_ne_u32_e32 vcc_lo, v11, v13
	v_lshl_or_b32 v13, v10, 12, v5
	s_wait_alu 0xfffd
	v_cndmask_b32_e64 v11, 0, 1, vcc_lo
	v_cmp_ne_u32_e32 vcc_lo, v9, v14
	v_lshl_or_b32 v14, v12, 12, v7
	s_delay_alu instid0(VALU_DEP_3) | instskip(SKIP_3) | instid1(VALU_DEP_2)
	v_or_b32_e32 v11, v15, v11
	s_wait_alu 0xfffd
	v_cndmask_b32_e64 v9, 0, 1, vcc_lo
	v_cmp_gt_i32_e32 vcc_lo, 1, v10
	v_or_b32_e32 v9, v16, v9
	s_wait_alu 0xfffd
	v_cndmask_b32_e32 v11, v13, v11, vcc_lo
	v_cmp_gt_i32_e32 vcc_lo, 1, v12
	s_delay_alu instid0(VALU_DEP_2)
	v_and_b32_e32 v13, 7, v11
	s_wait_alu 0xfffd
	v_cndmask_b32_e32 v9, v14, v9, vcc_lo
	v_cmp_ne_u32_e32 vcc_lo, 0, v5
	v_lshrrev_b32_e32 v11, 2, v11
	v_cmp_eq_u32_e64 s0, 3, v13
	s_delay_alu instid0(VALU_DEP_4)
	v_and_b32_e32 v14, 7, v9
	s_wait_alu 0xfffd
	v_cndmask_b32_e64 v5, 0, 1, vcc_lo
	v_cmp_ne_u32_e32 vcc_lo, 0, v7
	v_lshrrev_b32_e32 v9, 2, v9
	v_cmp_lt_i32_e64 s1, 5, v14
	v_cmp_eq_u32_e64 s2, 3, v14
	s_wait_alu 0xfffd
	v_cndmask_b32_e64 v7, 0, 1, vcc_lo
	v_cmp_lt_i32_e32 vcc_lo, 5, v13
	v_lshl_or_b32 v5, v5, 9, 0x7c00
	s_delay_alu instid0(VALU_DEP_3)
	v_lshl_or_b32 v7, v7, 9, 0x7c00
	s_or_b32 vcc_lo, s0, vcc_lo
	s_wait_alu 0xfffe
	v_add_co_ci_u32_e32 v11, vcc_lo, 0, v11, vcc_lo
	s_or_b32 vcc_lo, s2, s1
	s_wait_alu 0xfffe
	v_add_co_ci_u32_e32 v9, vcc_lo, 0, v9, vcc_lo
	v_cmp_gt_i32_e32 vcc_lo, 31, v10
	s_wait_alu 0xfffd
	v_cndmask_b32_e32 v11, 0x7c00, v11, vcc_lo
	v_cmp_gt_i32_e32 vcc_lo, 31, v12
	s_wait_alu 0xfffd
	v_cndmask_b32_e32 v9, 0x7c00, v9, vcc_lo
	v_cmp_eq_u32_e32 vcc_lo, 0x40f, v10
	s_wait_alu 0xfffd
	v_cndmask_b32_e32 v5, v11, v5, vcc_lo
	v_cmp_eq_u32_e32 vcc_lo, 0x40f, v12
	s_delay_alu instid0(VALU_DEP_2)
	v_and_or_b32 v5, 0x8000, v6, v5
	s_wait_alu 0xfffd
	v_cndmask_b32_e32 v7, v9, v7, vcc_lo
	v_add_co_u32 v3, vcc_lo, v3, s6
	s_wait_alu 0xfffd
	v_add_co_ci_u32_e32 v4, vcc_lo, s7, v4, vcc_lo
	s_delay_alu instid0(VALU_DEP_3) | instskip(SKIP_1) | instid1(VALU_DEP_1)
	v_and_or_b32 v6, 0x8000, v8, v7
	v_and_b32_e32 v5, 0xffff, v5
	v_lshl_or_b32 v5, v6, 16, v5
	global_store_b32 v[3:4], v5, off
	global_load_b32 v7, v36, s[12:13] offset:780
	ds_load_2addr_b32 v[5:6], v2 offset0:195 offset1:210
	s_wait_dscnt 0x0
	v_lshrrev_b32_e32 v8, 16, v5
	s_wait_loadcnt 0x0
	v_lshrrev_b32_e32 v9, 16, v7
	s_delay_alu instid0(VALU_DEP_1) | instskip(SKIP_1) | instid1(VALU_DEP_2)
	v_mul_f16_e32 v10, v8, v9
	v_mul_f16_e32 v9, v5, v9
	v_fmac_f16_e32 v10, v5, v7
	s_delay_alu instid0(VALU_DEP_2) | instskip(NEXT) | instid1(VALU_DEP_2)
	v_fma_f16 v5, v7, v8, -v9
	v_cvt_f32_f16_e32 v7, v10
	s_delay_alu instid0(VALU_DEP_2) | instskip(NEXT) | instid1(VALU_DEP_2)
	v_cvt_f32_f16_e32 v5, v5
	v_cvt_f64_f32_e32 v[7:8], v7
	s_delay_alu instid0(VALU_DEP_2) | instskip(NEXT) | instid1(VALU_DEP_2)
	v_cvt_f64_f32_e32 v[9:10], v5
	v_mul_f64_e32 v[7:8], s[8:9], v[7:8]
	s_delay_alu instid0(VALU_DEP_2) | instskip(NEXT) | instid1(VALU_DEP_2)
	v_mul_f64_e32 v[9:10], s[8:9], v[9:10]
	v_and_or_b32 v5, 0x1ff, v8, v7
	s_delay_alu instid0(VALU_DEP_2)
	v_and_or_b32 v9, 0x1ff, v10, v9
	v_lshrrev_b32_e32 v7, 8, v8
	v_bfe_u32 v11, v8, 20, 11
	v_lshrrev_b32_e32 v12, 8, v10
	v_cmp_ne_u32_e32 vcc_lo, 0, v5
	v_bfe_u32 v13, v10, 20, 11
	v_lshrrev_b32_e32 v8, 16, v8
	v_sub_nc_u32_e32 v14, 0x3f1, v11
	v_add_nc_u32_e32 v11, 0xfffffc10, v11
	s_wait_alu 0xfffd
	v_cndmask_b32_e64 v5, 0, 1, vcc_lo
	v_cmp_ne_u32_e32 vcc_lo, 0, v9
	v_lshrrev_b32_e32 v10, 16, v10
	s_delay_alu instid0(VALU_DEP_3) | instskip(SKIP_4) | instid1(VALU_DEP_3)
	v_and_or_b32 v5, 0xffe, v7, v5
	s_wait_alu 0xfffd
	v_cndmask_b32_e64 v9, 0, 1, vcc_lo
	v_sub_nc_u32_e32 v7, 0x3f1, v13
	v_add_nc_u32_e32 v13, 0xfffffc10, v13
	v_and_or_b32 v9, 0xffe, v12, v9
	v_med3_i32 v12, v14, 0, 13
	v_or_b32_e32 v14, 0x1000, v5
	v_med3_i32 v7, v7, 0, 13
	s_delay_alu instid0(VALU_DEP_4) | instskip(NEXT) | instid1(VALU_DEP_3)
	v_or_b32_e32 v15, 0x1000, v9
	v_lshrrev_b32_e32 v16, v12, v14
	s_delay_alu instid0(VALU_DEP_2) | instskip(NEXT) | instid1(VALU_DEP_2)
	v_lshrrev_b32_e32 v17, v7, v15
	v_lshlrev_b32_e32 v12, v12, v16
	s_delay_alu instid0(VALU_DEP_2) | instskip(NEXT) | instid1(VALU_DEP_2)
	v_lshlrev_b32_e32 v7, v7, v17
	v_cmp_ne_u32_e32 vcc_lo, v12, v14
	v_lshl_or_b32 v14, v11, 12, v5
	s_wait_alu 0xfffd
	v_cndmask_b32_e64 v12, 0, 1, vcc_lo
	v_cmp_ne_u32_e32 vcc_lo, v7, v15
	v_lshl_or_b32 v15, v13, 12, v9
	s_delay_alu instid0(VALU_DEP_3) | instskip(SKIP_3) | instid1(VALU_DEP_2)
	v_or_b32_e32 v12, v16, v12
	s_wait_alu 0xfffd
	v_cndmask_b32_e64 v7, 0, 1, vcc_lo
	v_cmp_gt_i32_e32 vcc_lo, 1, v11
	v_or_b32_e32 v7, v17, v7
	s_wait_alu 0xfffd
	v_cndmask_b32_e32 v12, v14, v12, vcc_lo
	v_cmp_gt_i32_e32 vcc_lo, 1, v13
	s_wait_alu 0xfffd
	s_delay_alu instid0(VALU_DEP_2) | instskip(SKIP_2) | instid1(VALU_DEP_3)
	v_dual_cndmask_b32 v7, v15, v7 :: v_dual_and_b32 v14, 7, v12
	v_cmp_ne_u32_e32 vcc_lo, 0, v5
	v_lshrrev_b32_e32 v12, 2, v12
	v_cmp_eq_u32_e64 s0, 3, v14
	s_delay_alu instid0(VALU_DEP_4)
	v_and_b32_e32 v15, 7, v7
	s_wait_alu 0xfffd
	v_cndmask_b32_e64 v5, 0, 1, vcc_lo
	v_cmp_ne_u32_e32 vcc_lo, 0, v9
	v_lshrrev_b32_e32 v7, 2, v7
	v_cmp_lt_i32_e64 s1, 5, v15
	v_cmp_eq_u32_e64 s2, 3, v15
	s_wait_alu 0xfffd
	v_cndmask_b32_e64 v9, 0, 1, vcc_lo
	v_cmp_lt_i32_e32 vcc_lo, 5, v14
	v_lshl_or_b32 v5, v5, 9, 0x7c00
	s_delay_alu instid0(VALU_DEP_3)
	v_lshl_or_b32 v9, v9, 9, 0x7c00
	s_or_b32 vcc_lo, s0, vcc_lo
	s_wait_alu 0xfffe
	v_add_co_ci_u32_e32 v12, vcc_lo, 0, v12, vcc_lo
	s_or_b32 vcc_lo, s2, s1
	s_wait_alu 0xfffe
	v_add_co_ci_u32_e32 v7, vcc_lo, 0, v7, vcc_lo
	v_cmp_gt_i32_e32 vcc_lo, 31, v11
	s_wait_alu 0xfffd
	v_cndmask_b32_e32 v12, 0x7c00, v12, vcc_lo
	v_cmp_gt_i32_e32 vcc_lo, 31, v13
	s_wait_alu 0xfffd
	v_cndmask_b32_e32 v7, 0x7c00, v7, vcc_lo
	v_cmp_eq_u32_e32 vcc_lo, 0x40f, v11
	s_wait_alu 0xfffd
	v_cndmask_b32_e32 v5, v12, v5, vcc_lo
	v_cmp_eq_u32_e32 vcc_lo, 0x40f, v13
	s_delay_alu instid0(VALU_DEP_2)
	v_and_or_b32 v5, 0x8000, v8, v5
	s_wait_alu 0xfffd
	v_cndmask_b32_e32 v7, v7, v9, vcc_lo
	v_add_co_u32 v3, vcc_lo, v3, s6
	s_wait_alu 0xfffd
	v_add_co_ci_u32_e32 v4, vcc_lo, s7, v4, vcc_lo
	s_delay_alu instid0(VALU_DEP_3) | instskip(SKIP_1) | instid1(VALU_DEP_1)
	v_and_or_b32 v7, 0x8000, v10, v7
	v_and_b32_e32 v5, 0xffff, v5
	v_lshl_or_b32 v5, v7, 16, v5
	v_lshrrev_b32_e32 v7, 16, v6
	global_store_b32 v[3:4], v5, off
	global_load_b32 v5, v36, s[12:13] offset:840
	s_wait_loadcnt 0x0
	v_lshrrev_b32_e32 v8, 16, v5
	s_delay_alu instid0(VALU_DEP_1) | instskip(SKIP_1) | instid1(VALU_DEP_2)
	v_mul_f16_e32 v9, v7, v8
	v_mul_f16_e32 v8, v6, v8
	v_fmac_f16_e32 v9, v6, v5
	s_delay_alu instid0(VALU_DEP_2) | instskip(NEXT) | instid1(VALU_DEP_2)
	v_fma_f16 v5, v5, v7, -v8
	v_cvt_f32_f16_e32 v6, v9
	s_delay_alu instid0(VALU_DEP_2) | instskip(NEXT) | instid1(VALU_DEP_2)
	v_cvt_f32_f16_e32 v7, v5
	v_cvt_f64_f32_e32 v[5:6], v6
	s_delay_alu instid0(VALU_DEP_2) | instskip(NEXT) | instid1(VALU_DEP_2)
	v_cvt_f64_f32_e32 v[7:8], v7
	v_mul_f64_e32 v[5:6], s[8:9], v[5:6]
	s_delay_alu instid0(VALU_DEP_2) | instskip(NEXT) | instid1(VALU_DEP_2)
	v_mul_f64_e32 v[7:8], s[8:9], v[7:8]
	v_and_or_b32 v5, 0x1ff, v6, v5
	s_delay_alu instid0(VALU_DEP_2)
	v_and_or_b32 v7, 0x1ff, v8, v7
	v_lshrrev_b32_e32 v9, 8, v6
	v_bfe_u32 v10, v6, 20, 11
	v_lshrrev_b32_e32 v11, 8, v8
	v_cmp_ne_u32_e32 vcc_lo, 0, v5
	v_bfe_u32 v12, v8, 20, 11
	v_lshrrev_b32_e32 v6, 16, v6
	v_sub_nc_u32_e32 v13, 0x3f1, v10
	v_add_nc_u32_e32 v10, 0xfffffc10, v10
	s_wait_alu 0xfffd
	v_cndmask_b32_e64 v5, 0, 1, vcc_lo
	v_cmp_ne_u32_e32 vcc_lo, 0, v7
	v_lshrrev_b32_e32 v8, 16, v8
	s_delay_alu instid0(VALU_DEP_3) | instskip(SKIP_4) | instid1(VALU_DEP_3)
	v_and_or_b32 v5, 0xffe, v9, v5
	s_wait_alu 0xfffd
	v_cndmask_b32_e64 v7, 0, 1, vcc_lo
	v_sub_nc_u32_e32 v9, 0x3f1, v12
	v_add_nc_u32_e32 v12, 0xfffffc10, v12
	v_and_or_b32 v7, 0xffe, v11, v7
	v_med3_i32 v11, v13, 0, 13
	v_or_b32_e32 v13, 0x1000, v5
	v_med3_i32 v9, v9, 0, 13
	s_delay_alu instid0(VALU_DEP_4) | instskip(NEXT) | instid1(VALU_DEP_3)
	v_or_b32_e32 v14, 0x1000, v7
	v_lshrrev_b32_e32 v15, v11, v13
	s_delay_alu instid0(VALU_DEP_2) | instskip(NEXT) | instid1(VALU_DEP_2)
	v_lshrrev_b32_e32 v16, v9, v14
	v_lshlrev_b32_e32 v11, v11, v15
	s_delay_alu instid0(VALU_DEP_2) | instskip(NEXT) | instid1(VALU_DEP_2)
	v_lshlrev_b32_e32 v9, v9, v16
	v_cmp_ne_u32_e32 vcc_lo, v11, v13
	v_lshl_or_b32 v13, v10, 12, v5
	s_wait_alu 0xfffd
	v_cndmask_b32_e64 v11, 0, 1, vcc_lo
	v_cmp_ne_u32_e32 vcc_lo, v9, v14
	v_lshl_or_b32 v14, v12, 12, v7
	s_delay_alu instid0(VALU_DEP_3) | instskip(SKIP_3) | instid1(VALU_DEP_2)
	v_or_b32_e32 v11, v15, v11
	s_wait_alu 0xfffd
	v_cndmask_b32_e64 v9, 0, 1, vcc_lo
	v_cmp_gt_i32_e32 vcc_lo, 1, v10
	v_or_b32_e32 v9, v16, v9
	s_wait_alu 0xfffd
	v_cndmask_b32_e32 v11, v13, v11, vcc_lo
	v_cmp_gt_i32_e32 vcc_lo, 1, v12
	s_delay_alu instid0(VALU_DEP_2)
	v_and_b32_e32 v13, 7, v11
	s_wait_alu 0xfffd
	v_cndmask_b32_e32 v9, v14, v9, vcc_lo
	v_cmp_ne_u32_e32 vcc_lo, 0, v5
	v_lshrrev_b32_e32 v11, 2, v11
	v_cmp_eq_u32_e64 s0, 3, v13
	s_delay_alu instid0(VALU_DEP_4)
	v_and_b32_e32 v14, 7, v9
	s_wait_alu 0xfffd
	v_cndmask_b32_e64 v5, 0, 1, vcc_lo
	v_cmp_ne_u32_e32 vcc_lo, 0, v7
	v_lshrrev_b32_e32 v9, 2, v9
	v_cmp_lt_i32_e64 s1, 5, v14
	v_cmp_eq_u32_e64 s2, 3, v14
	s_wait_alu 0xfffd
	v_cndmask_b32_e64 v7, 0, 1, vcc_lo
	v_cmp_lt_i32_e32 vcc_lo, 5, v13
	v_lshl_or_b32 v5, v5, 9, 0x7c00
	s_delay_alu instid0(VALU_DEP_3)
	v_lshl_or_b32 v7, v7, 9, 0x7c00
	s_or_b32 vcc_lo, s0, vcc_lo
	s_wait_alu 0xfffe
	v_add_co_ci_u32_e32 v11, vcc_lo, 0, v11, vcc_lo
	s_or_b32 vcc_lo, s2, s1
	s_wait_alu 0xfffe
	v_add_co_ci_u32_e32 v9, vcc_lo, 0, v9, vcc_lo
	v_cmp_gt_i32_e32 vcc_lo, 31, v10
	s_wait_alu 0xfffd
	v_cndmask_b32_e32 v11, 0x7c00, v11, vcc_lo
	v_cmp_gt_i32_e32 vcc_lo, 31, v12
	s_wait_alu 0xfffd
	v_cndmask_b32_e32 v9, 0x7c00, v9, vcc_lo
	v_cmp_eq_u32_e32 vcc_lo, 0x40f, v10
	s_wait_alu 0xfffd
	v_cndmask_b32_e32 v5, v11, v5, vcc_lo
	v_cmp_eq_u32_e32 vcc_lo, 0x40f, v12
	s_delay_alu instid0(VALU_DEP_2)
	v_and_or_b32 v5, 0x8000, v6, v5
	s_wait_alu 0xfffd
	v_cndmask_b32_e32 v7, v9, v7, vcc_lo
	v_add_co_u32 v3, vcc_lo, v3, s6
	s_wait_alu 0xfffd
	v_add_co_ci_u32_e32 v4, vcc_lo, s7, v4, vcc_lo
	s_delay_alu instid0(VALU_DEP_3) | instskip(SKIP_1) | instid1(VALU_DEP_1)
	v_and_or_b32 v6, 0x8000, v8, v7
	v_and_b32_e32 v5, 0xffff, v5
	v_lshl_or_b32 v5, v6, 16, v5
	global_store_b32 v[3:4], v5, off
	global_load_b32 v7, v36, s[12:13] offset:900
	ds_load_2addr_b32 v[5:6], v2 offset0:225 offset1:240
	s_wait_dscnt 0x0
	v_lshrrev_b32_e32 v2, 16, v5
	s_wait_loadcnt 0x0
	v_lshrrev_b32_e32 v8, 16, v7
	s_delay_alu instid0(VALU_DEP_1) | instskip(SKIP_1) | instid1(VALU_DEP_2)
	v_mul_f16_e32 v9, v2, v8
	v_mul_f16_e32 v8, v5, v8
	v_fmac_f16_e32 v9, v5, v7
	s_delay_alu instid0(VALU_DEP_2) | instskip(NEXT) | instid1(VALU_DEP_2)
	v_fma_f16 v2, v7, v2, -v8
	v_cvt_f32_f16_e32 v5, v9
	s_delay_alu instid0(VALU_DEP_2) | instskip(NEXT) | instid1(VALU_DEP_2)
	v_cvt_f32_f16_e32 v2, v2
	v_cvt_f64_f32_e32 v[7:8], v5
	s_delay_alu instid0(VALU_DEP_2) | instskip(NEXT) | instid1(VALU_DEP_2)
	v_cvt_f64_f32_e32 v[9:10], v2
	v_mul_f64_e32 v[7:8], s[8:9], v[7:8]
	s_delay_alu instid0(VALU_DEP_2) | instskip(NEXT) | instid1(VALU_DEP_2)
	v_mul_f64_e32 v[9:10], s[8:9], v[9:10]
	v_and_or_b32 v2, 0x1ff, v8, v7
	s_delay_alu instid0(VALU_DEP_2)
	v_and_or_b32 v9, 0x1ff, v10, v9
	v_lshrrev_b32_e32 v5, 8, v8
	v_bfe_u32 v7, v8, 20, 11
	v_lshrrev_b32_e32 v11, 8, v10
	v_cmp_ne_u32_e32 vcc_lo, 0, v2
	v_bfe_u32 v12, v10, 20, 11
	v_lshrrev_b32_e32 v8, 16, v8
	v_sub_nc_u32_e32 v13, 0x3f1, v7
	v_add_nc_u32_e32 v7, 0xfffffc10, v7
	s_wait_alu 0xfffd
	v_cndmask_b32_e64 v2, 0, 1, vcc_lo
	v_cmp_ne_u32_e32 vcc_lo, 0, v9
	s_delay_alu instid0(VALU_DEP_2) | instskip(SKIP_4) | instid1(VALU_DEP_3)
	v_and_or_b32 v2, 0xffe, v5, v2
	s_wait_alu 0xfffd
	v_cndmask_b32_e64 v9, 0, 1, vcc_lo
	v_sub_nc_u32_e32 v5, 0x3f1, v12
	v_add_nc_u32_e32 v12, 0xfffffc10, v12
	v_and_or_b32 v9, 0xffe, v11, v9
	v_med3_i32 v11, v13, 0, 13
	v_or_b32_e32 v13, 0x1000, v2
	v_med3_i32 v5, v5, 0, 13
	s_delay_alu instid0(VALU_DEP_4) | instskip(NEXT) | instid1(VALU_DEP_3)
	v_or_b32_e32 v14, 0x1000, v9
	v_lshrrev_b32_e32 v15, v11, v13
	s_delay_alu instid0(VALU_DEP_2) | instskip(NEXT) | instid1(VALU_DEP_2)
	v_lshrrev_b32_e32 v16, v5, v14
	v_lshlrev_b32_e32 v11, v11, v15
	s_delay_alu instid0(VALU_DEP_2) | instskip(NEXT) | instid1(VALU_DEP_2)
	v_lshlrev_b32_e32 v5, v5, v16
	v_cmp_ne_u32_e32 vcc_lo, v11, v13
	v_lshl_or_b32 v13, v7, 12, v2
	s_wait_alu 0xfffd
	v_cndmask_b32_e64 v11, 0, 1, vcc_lo
	v_cmp_ne_u32_e32 vcc_lo, v5, v14
	v_lshl_or_b32 v14, v12, 12, v9
	s_delay_alu instid0(VALU_DEP_3) | instskip(SKIP_3) | instid1(VALU_DEP_2)
	v_or_b32_e32 v11, v15, v11
	s_wait_alu 0xfffd
	v_cndmask_b32_e64 v5, 0, 1, vcc_lo
	v_cmp_gt_i32_e32 vcc_lo, 1, v7
	v_or_b32_e32 v5, v16, v5
	s_wait_alu 0xfffd
	v_cndmask_b32_e32 v11, v13, v11, vcc_lo
	v_cmp_gt_i32_e32 vcc_lo, 1, v12
	s_delay_alu instid0(VALU_DEP_2)
	v_and_b32_e32 v13, 7, v11
	s_wait_alu 0xfffd
	v_cndmask_b32_e32 v5, v14, v5, vcc_lo
	v_cmp_ne_u32_e32 vcc_lo, 0, v2
	v_lshrrev_b32_e32 v11, 2, v11
	v_cmp_eq_u32_e64 s0, 3, v13
	s_delay_alu instid0(VALU_DEP_4)
	v_and_b32_e32 v14, 7, v5
	s_wait_alu 0xfffd
	v_cndmask_b32_e64 v2, 0, 1, vcc_lo
	v_cmp_ne_u32_e32 vcc_lo, 0, v9
	v_lshrrev_b32_e32 v5, 2, v5
	v_cmp_lt_i32_e64 s1, 5, v14
	v_cmp_eq_u32_e64 s2, 3, v14
	s_wait_alu 0xfffd
	v_cndmask_b32_e64 v9, 0, 1, vcc_lo
	v_cmp_lt_i32_e32 vcc_lo, 5, v13
	v_lshl_or_b32 v2, v2, 9, 0x7c00
	s_delay_alu instid0(VALU_DEP_3)
	v_lshl_or_b32 v9, v9, 9, 0x7c00
	s_or_b32 vcc_lo, s0, vcc_lo
	s_wait_alu 0xfffe
	v_add_co_ci_u32_e32 v11, vcc_lo, 0, v11, vcc_lo
	s_or_b32 vcc_lo, s2, s1
	s_wait_alu 0xfffe
	v_add_co_ci_u32_e32 v5, vcc_lo, 0, v5, vcc_lo
	v_cmp_gt_i32_e32 vcc_lo, 31, v7
	s_wait_alu 0xfffd
	v_cndmask_b32_e32 v11, 0x7c00, v11, vcc_lo
	v_cmp_gt_i32_e32 vcc_lo, 31, v12
	s_wait_alu 0xfffd
	v_cndmask_b32_e32 v5, 0x7c00, v5, vcc_lo
	v_cmp_eq_u32_e32 vcc_lo, 0x40f, v7
	v_lshrrev_b32_e32 v7, 16, v10
	s_wait_alu 0xfffd
	v_cndmask_b32_e32 v2, v11, v2, vcc_lo
	v_cmp_eq_u32_e32 vcc_lo, 0x40f, v12
	s_delay_alu instid0(VALU_DEP_2) | instskip(SKIP_2) | instid1(VALU_DEP_1)
	v_and_or_b32 v2, 0x8000, v8, v2
	s_wait_alu 0xfffd
	v_cndmask_b32_e32 v5, v5, v9, vcc_lo
	v_and_or_b32 v5, 0x8000, v7, v5
	s_delay_alu instid0(VALU_DEP_3) | instskip(SKIP_3) | instid1(VALU_DEP_3)
	v_and_b32_e32 v7, 0xffff, v2
	v_add_co_u32 v2, vcc_lo, v3, s6
	s_wait_alu 0xfffd
	v_add_co_ci_u32_e32 v3, vcc_lo, s7, v4, vcc_lo
	v_lshl_or_b32 v4, v5, 16, v7
	global_store_b32 v[2:3], v4, off
	global_load_b32 v2, v36, s[12:13] offset:960
	v_lshrrev_b32_e32 v3, 16, v6
	s_wait_loadcnt 0x0
	v_lshrrev_b32_e32 v4, 16, v2
	s_delay_alu instid0(VALU_DEP_1) | instskip(SKIP_1) | instid1(VALU_DEP_2)
	v_mul_f16_e32 v5, v3, v4
	v_mul_f16_e32 v4, v6, v4
	v_fmac_f16_e32 v5, v6, v2
	s_delay_alu instid0(VALU_DEP_2) | instskip(NEXT) | instid1(VALU_DEP_2)
	v_fma_f16 v2, v2, v3, -v4
	v_cvt_f32_f16_e32 v3, v5
	s_delay_alu instid0(VALU_DEP_2) | instskip(NEXT) | instid1(VALU_DEP_2)
	v_cvt_f32_f16_e32 v4, v2
	v_cvt_f64_f32_e32 v[2:3], v3
	s_delay_alu instid0(VALU_DEP_2) | instskip(NEXT) | instid1(VALU_DEP_2)
	v_cvt_f64_f32_e32 v[4:5], v4
	v_mul_f64_e32 v[2:3], s[8:9], v[2:3]
	s_delay_alu instid0(VALU_DEP_2) | instskip(NEXT) | instid1(VALU_DEP_2)
	v_mul_f64_e32 v[4:5], s[8:9], v[4:5]
	v_and_or_b32 v2, 0x1ff, v3, v2
	s_delay_alu instid0(VALU_DEP_2)
	v_and_or_b32 v4, 0x1ff, v5, v4
	v_lshrrev_b32_e32 v6, 8, v3
	v_bfe_u32 v8, v3, 20, 11
	v_bfe_u32 v9, v5, 20, 11
	v_cmp_ne_u32_e32 vcc_lo, 0, v2
	v_lshrrev_b32_e32 v7, 8, v5
	v_lshrrev_b32_e32 v5, 16, v5
	v_sub_nc_u32_e32 v10, 0x3f1, v8
	v_sub_nc_u32_e32 v11, 0x3f1, v9
	s_wait_alu 0xfffd
	v_cndmask_b32_e64 v2, 0, 1, vcc_lo
	v_cmp_ne_u32_e32 vcc_lo, 0, v4
	v_add_nc_u32_e32 v9, 0xfffffc10, v9
	s_delay_alu instid0(VALU_DEP_3)
	v_and_or_b32 v12, 0xffe, v6, v2
	s_wait_alu 0xfffd
	v_cndmask_b32_e64 v4, 0, 1, vcc_lo
	v_med3_i32 v2, v10, 0, 13
	v_med3_i32 v10, v11, 0, 13
	v_or_b32_e32 v11, 0x1000, v12
	s_delay_alu instid0(VALU_DEP_4) | instskip(SKIP_1) | instid1(VALU_DEP_3)
	v_and_or_b32 v4, 0xffe, v7, v4
	v_mad_co_u64_u32 v[6:7], null, s4, v35, 0
	v_lshrrev_b32_e32 v14, v2, v11
	s_delay_alu instid0(VALU_DEP_3) | instskip(NEXT) | instid1(VALU_DEP_2)
	v_or_b32_e32 v13, 0x1000, v4
	v_lshlrev_b32_e32 v16, v2, v14
	s_delay_alu instid0(VALU_DEP_2) | instskip(SKIP_1) | instid1(VALU_DEP_3)
	v_lshrrev_b32_e32 v15, v10, v13
	v_mov_b32_e32 v2, v7
	v_cmp_ne_u32_e32 vcc_lo, v16, v11
	s_delay_alu instid0(VALU_DEP_3) | instskip(SKIP_3) | instid1(VALU_DEP_3)
	v_lshlrev_b32_e32 v7, v10, v15
	v_add_nc_u32_e32 v10, 0xfffffc10, v8
	s_wait_alu 0xfffd
	v_cndmask_b32_e64 v11, 0, 1, vcc_lo
	v_cmp_ne_u32_e32 vcc_lo, v7, v13
	v_mad_co_u64_u32 v[7:8], null, s5, v35, v[2:3]
	v_lshl_or_b32 v2, v10, 12, v12
	s_delay_alu instid0(VALU_DEP_4)
	v_or_b32_e32 v8, v14, v11
	s_wait_alu 0xfffd
	v_cndmask_b32_e64 v13, 0, 1, vcc_lo
	v_cmp_gt_i32_e32 vcc_lo, 1, v10
	v_lshl_or_b32 v11, v9, 12, v4
	v_lshrrev_b32_e32 v3, 16, v3
	s_delay_alu instid0(VALU_DEP_4)
	v_or_b32_e32 v13, v15, v13
	s_wait_alu 0xfffd
	v_cndmask_b32_e32 v2, v2, v8, vcc_lo
	v_cmp_gt_i32_e32 vcc_lo, 1, v9
	s_wait_alu 0xfffd
	v_cndmask_b32_e32 v8, v11, v13, vcc_lo
	v_cmp_ne_u32_e32 vcc_lo, 0, v12
	v_and_b32_e32 v12, 7, v2
	v_lshrrev_b32_e32 v2, 2, v2
	s_delay_alu instid0(VALU_DEP_4)
	v_and_b32_e32 v13, 7, v8
	s_wait_alu 0xfffd
	v_cndmask_b32_e64 v11, 0, 1, vcc_lo
	v_cmp_ne_u32_e32 vcc_lo, 0, v4
	v_cmp_eq_u32_e64 s0, 3, v12
	v_lshrrev_b32_e32 v8, 2, v8
	v_cmp_lt_i32_e64 s1, 5, v13
	v_cmp_eq_u32_e64 s2, 3, v13
	s_wait_alu 0xfffd
	v_cndmask_b32_e64 v4, 0, 1, vcc_lo
	v_cmp_lt_i32_e32 vcc_lo, 5, v12
	v_lshl_or_b32 v11, v11, 9, 0x7c00
	s_delay_alu instid0(VALU_DEP_3)
	v_lshl_or_b32 v4, v4, 9, 0x7c00
	s_or_b32 vcc_lo, s0, vcc_lo
	s_wait_alu 0xfffe
	v_add_co_ci_u32_e32 v2, vcc_lo, 0, v2, vcc_lo
	s_or_b32 vcc_lo, s2, s1
	s_wait_alu 0xfffe
	v_add_co_ci_u32_e32 v8, vcc_lo, 0, v8, vcc_lo
	v_cmp_gt_i32_e32 vcc_lo, 31, v10
	s_wait_alu 0xfffd
	v_cndmask_b32_e32 v2, 0x7c00, v2, vcc_lo
	v_cmp_gt_i32_e32 vcc_lo, 31, v9
	s_wait_alu 0xfffd
	v_cndmask_b32_e32 v8, 0x7c00, v8, vcc_lo
	v_cmp_eq_u32_e32 vcc_lo, 0x40f, v10
	s_wait_alu 0xfffd
	v_cndmask_b32_e32 v2, v2, v11, vcc_lo
	v_cmp_eq_u32_e32 vcc_lo, 0x40f, v9
	s_delay_alu instid0(VALU_DEP_2) | instskip(SKIP_2) | instid1(VALU_DEP_1)
	v_and_or_b32 v2, 0x8000, v3, v2
	s_wait_alu 0xfffd
	v_cndmask_b32_e32 v4, v8, v4, vcc_lo
	v_and_or_b32 v4, 0x8000, v5, v4
	s_delay_alu instid0(VALU_DEP_3) | instskip(SKIP_1) | instid1(VALU_DEP_2)
	v_and_b32_e32 v5, 0xffff, v2
	v_lshlrev_b64_e32 v[2:3], 2, v[6:7]
	v_lshl_or_b32 v4, v4, 16, v5
	s_delay_alu instid0(VALU_DEP_2) | instskip(SKIP_1) | instid1(VALU_DEP_3)
	v_add_co_u32 v0, vcc_lo, v0, v2
	s_wait_alu 0xfffd
	v_add_co_ci_u32_e32 v1, vcc_lo, v1, v3, vcc_lo
	global_store_b32 v[0:1], v4, off
.LBB0_15:
	s_nop 0
	s_sendmsg sendmsg(MSG_DEALLOC_VGPRS)
	s_endpgm
	.section	.rodata,"a",@progbits
	.p2align	6, 0x0
	.amdhsa_kernel bluestein_single_fwd_len255_dim1_half_op_CI_CI
		.amdhsa_group_segment_fixed_size 3060
		.amdhsa_private_segment_fixed_size 0
		.amdhsa_kernarg_size 104
		.amdhsa_user_sgpr_count 2
		.amdhsa_user_sgpr_dispatch_ptr 0
		.amdhsa_user_sgpr_queue_ptr 0
		.amdhsa_user_sgpr_kernarg_segment_ptr 1
		.amdhsa_user_sgpr_dispatch_id 0
		.amdhsa_user_sgpr_private_segment_size 0
		.amdhsa_wavefront_size32 1
		.amdhsa_uses_dynamic_stack 0
		.amdhsa_enable_private_segment 0
		.amdhsa_system_sgpr_workgroup_id_x 1
		.amdhsa_system_sgpr_workgroup_id_y 0
		.amdhsa_system_sgpr_workgroup_id_z 0
		.amdhsa_system_sgpr_workgroup_info 0
		.amdhsa_system_vgpr_workitem_id 0
		.amdhsa_next_free_vgpr 239
		.amdhsa_next_free_sgpr 16
		.amdhsa_reserve_vcc 1
		.amdhsa_float_round_mode_32 0
		.amdhsa_float_round_mode_16_64 0
		.amdhsa_float_denorm_mode_32 3
		.amdhsa_float_denorm_mode_16_64 3
		.amdhsa_fp16_overflow 0
		.amdhsa_workgroup_processor_mode 1
		.amdhsa_memory_ordered 1
		.amdhsa_forward_progress 0
		.amdhsa_round_robin_scheduling 0
		.amdhsa_exception_fp_ieee_invalid_op 0
		.amdhsa_exception_fp_denorm_src 0
		.amdhsa_exception_fp_ieee_div_zero 0
		.amdhsa_exception_fp_ieee_overflow 0
		.amdhsa_exception_fp_ieee_underflow 0
		.amdhsa_exception_fp_ieee_inexact 0
		.amdhsa_exception_int_div_zero 0
	.end_amdhsa_kernel
	.text
.Lfunc_end0:
	.size	bluestein_single_fwd_len255_dim1_half_op_CI_CI, .Lfunc_end0-bluestein_single_fwd_len255_dim1_half_op_CI_CI
                                        ; -- End function
	.section	.AMDGPU.csdata,"",@progbits
; Kernel info:
; codeLenInByte = 32960
; NumSgprs: 18
; NumVgprs: 239
; ScratchSize: 0
; MemoryBound: 0
; FloatMode: 240
; IeeeMode: 1
; LDSByteSize: 3060 bytes/workgroup (compile time only)
; SGPRBlocks: 2
; VGPRBlocks: 29
; NumSGPRsForWavesPerEU: 18
; NumVGPRsForWavesPerEU: 239
; Occupancy: 6
; WaveLimiterHint : 1
; COMPUTE_PGM_RSRC2:SCRATCH_EN: 0
; COMPUTE_PGM_RSRC2:USER_SGPR: 2
; COMPUTE_PGM_RSRC2:TRAP_HANDLER: 0
; COMPUTE_PGM_RSRC2:TGID_X_EN: 1
; COMPUTE_PGM_RSRC2:TGID_Y_EN: 0
; COMPUTE_PGM_RSRC2:TGID_Z_EN: 0
; COMPUTE_PGM_RSRC2:TIDIG_COMP_CNT: 0
	.text
	.p2alignl 7, 3214868480
	.fill 96, 4, 3214868480
	.type	__hip_cuid_eb50737a0a5d54e5,@object ; @__hip_cuid_eb50737a0a5d54e5
	.section	.bss,"aw",@nobits
	.globl	__hip_cuid_eb50737a0a5d54e5
__hip_cuid_eb50737a0a5d54e5:
	.byte	0                               ; 0x0
	.size	__hip_cuid_eb50737a0a5d54e5, 1

	.ident	"AMD clang version 19.0.0git (https://github.com/RadeonOpenCompute/llvm-project roc-6.4.0 25133 c7fe45cf4b819c5991fe208aaa96edf142730f1d)"
	.section	".note.GNU-stack","",@progbits
	.addrsig
	.addrsig_sym __hip_cuid_eb50737a0a5d54e5
	.amdgpu_metadata
---
amdhsa.kernels:
  - .args:
      - .actual_access:  read_only
        .address_space:  global
        .offset:         0
        .size:           8
        .value_kind:     global_buffer
      - .actual_access:  read_only
        .address_space:  global
        .offset:         8
        .size:           8
        .value_kind:     global_buffer
      - .actual_access:  read_only
        .address_space:  global
        .offset:         16
        .size:           8
        .value_kind:     global_buffer
      - .actual_access:  read_only
        .address_space:  global
        .offset:         24
        .size:           8
        .value_kind:     global_buffer
      - .actual_access:  read_only
        .address_space:  global
        .offset:         32
        .size:           8
        .value_kind:     global_buffer
      - .offset:         40
        .size:           8
        .value_kind:     by_value
      - .address_space:  global
        .offset:         48
        .size:           8
        .value_kind:     global_buffer
      - .address_space:  global
        .offset:         56
        .size:           8
        .value_kind:     global_buffer
      - .address_space:  global
        .offset:         64
        .size:           8
        .value_kind:     global_buffer
      - .address_space:  global
        .offset:         72
        .size:           8
        .value_kind:     global_buffer
      - .offset:         80
        .size:           4
        .value_kind:     by_value
      - .address_space:  global
        .offset:         88
        .size:           8
        .value_kind:     global_buffer
      - .address_space:  global
        .offset:         96
        .size:           8
        .value_kind:     global_buffer
    .group_segment_fixed_size: 3060
    .kernarg_segment_align: 8
    .kernarg_segment_size: 104
    .language:       OpenCL C
    .language_version:
      - 2
      - 0
    .max_flat_workgroup_size: 51
    .name:           bluestein_single_fwd_len255_dim1_half_op_CI_CI
    .private_segment_fixed_size: 0
    .sgpr_count:     18
    .sgpr_spill_count: 0
    .symbol:         bluestein_single_fwd_len255_dim1_half_op_CI_CI.kd
    .uniform_work_group_size: 1
    .uses_dynamic_stack: false
    .vgpr_count:     239
    .vgpr_spill_count: 0
    .wavefront_size: 32
    .workgroup_processor_mode: 1
amdhsa.target:   amdgcn-amd-amdhsa--gfx1201
amdhsa.version:
  - 1
  - 2
...

	.end_amdgpu_metadata
